;; amdgpu-corpus repo=ROCm/rocFFT kind=compiled arch=gfx906 opt=O3
	.text
	.amdgcn_target "amdgcn-amd-amdhsa--gfx906"
	.amdhsa_code_object_version 6
	.protected	fft_rtc_back_len3200_factors_10_10_4_4_2_wgs_160_tpt_160_halfLds_dp_op_CI_CI_unitstride_sbrr_R2C_dirReg ; -- Begin function fft_rtc_back_len3200_factors_10_10_4_4_2_wgs_160_tpt_160_halfLds_dp_op_CI_CI_unitstride_sbrr_R2C_dirReg
	.globl	fft_rtc_back_len3200_factors_10_10_4_4_2_wgs_160_tpt_160_halfLds_dp_op_CI_CI_unitstride_sbrr_R2C_dirReg
	.p2align	8
	.type	fft_rtc_back_len3200_factors_10_10_4_4_2_wgs_160_tpt_160_halfLds_dp_op_CI_CI_unitstride_sbrr_R2C_dirReg,@function
fft_rtc_back_len3200_factors_10_10_4_4_2_wgs_160_tpt_160_halfLds_dp_op_CI_CI_unitstride_sbrr_R2C_dirReg: ; @fft_rtc_back_len3200_factors_10_10_4_4_2_wgs_160_tpt_160_halfLds_dp_op_CI_CI_unitstride_sbrr_R2C_dirReg
; %bb.0:
	s_load_dwordx4 s[8:11], s[4:5], 0x58
	s_load_dwordx4 s[12:15], s[4:5], 0x0
	;; [unrolled: 1-line block ×3, first 2 shown]
	v_mul_u32_u24_e32 v1, 0x19a, v0
	v_add_u32_sdwa v5, s6, v1 dst_sel:DWORD dst_unused:UNUSED_PAD src0_sel:DWORD src1_sel:WORD_1
	v_mov_b32_e32 v3, 0
	s_waitcnt lgkmcnt(0)
	v_cmp_lt_u64_e64 s[0:1], s[14:15], 2
	v_mov_b32_e32 v1, 0
	v_mov_b32_e32 v6, v3
	s_and_b64 vcc, exec, s[0:1]
	v_mov_b32_e32 v2, 0
	s_cbranch_vccnz .LBB0_8
; %bb.1:
	s_load_dwordx2 s[0:1], s[4:5], 0x10
	s_add_u32 s2, s18, 8
	s_addc_u32 s3, s19, 0
	s_add_u32 s6, s16, 8
	v_mov_b32_e32 v1, 0
	s_addc_u32 s7, s17, 0
	v_mov_b32_e32 v2, 0
	s_waitcnt lgkmcnt(0)
	s_add_u32 s20, s0, 8
	v_mov_b32_e32 v59, v2
	s_addc_u32 s21, s1, 0
	s_mov_b64 s[22:23], 1
	v_mov_b32_e32 v58, v1
.LBB0_2:                                ; =>This Inner Loop Header: Depth=1
	s_load_dwordx2 s[24:25], s[20:21], 0x0
                                        ; implicit-def: $vgpr60_vgpr61
	s_waitcnt lgkmcnt(0)
	v_or_b32_e32 v4, s25, v6
	v_cmp_ne_u64_e32 vcc, 0, v[3:4]
	s_and_saveexec_b64 s[0:1], vcc
	s_xor_b64 s[26:27], exec, s[0:1]
	s_cbranch_execz .LBB0_4
; %bb.3:                                ;   in Loop: Header=BB0_2 Depth=1
	v_cvt_f32_u32_e32 v4, s24
	v_cvt_f32_u32_e32 v7, s25
	s_sub_u32 s0, 0, s24
	s_subb_u32 s1, 0, s25
	v_mac_f32_e32 v4, 0x4f800000, v7
	v_rcp_f32_e32 v4, v4
	v_mul_f32_e32 v4, 0x5f7ffffc, v4
	v_mul_f32_e32 v7, 0x2f800000, v4
	v_trunc_f32_e32 v7, v7
	v_mac_f32_e32 v4, 0xcf800000, v7
	v_cvt_u32_f32_e32 v7, v7
	v_cvt_u32_f32_e32 v4, v4
	v_mul_lo_u32 v8, s0, v7
	v_mul_hi_u32 v9, s0, v4
	v_mul_lo_u32 v11, s1, v4
	v_mul_lo_u32 v10, s0, v4
	v_add_u32_e32 v8, v9, v8
	v_add_u32_e32 v8, v8, v11
	v_mul_hi_u32 v9, v4, v10
	v_mul_lo_u32 v11, v4, v8
	v_mul_hi_u32 v13, v4, v8
	v_mul_hi_u32 v12, v7, v10
	v_mul_lo_u32 v10, v7, v10
	v_mul_hi_u32 v14, v7, v8
	v_add_co_u32_e32 v9, vcc, v9, v11
	v_addc_co_u32_e32 v11, vcc, 0, v13, vcc
	v_mul_lo_u32 v8, v7, v8
	v_add_co_u32_e32 v9, vcc, v9, v10
	v_addc_co_u32_e32 v9, vcc, v11, v12, vcc
	v_addc_co_u32_e32 v10, vcc, 0, v14, vcc
	v_add_co_u32_e32 v8, vcc, v9, v8
	v_addc_co_u32_e32 v9, vcc, 0, v10, vcc
	v_add_co_u32_e32 v4, vcc, v4, v8
	v_addc_co_u32_e32 v7, vcc, v7, v9, vcc
	v_mul_lo_u32 v8, s0, v7
	v_mul_hi_u32 v9, s0, v4
	v_mul_lo_u32 v10, s1, v4
	v_mul_lo_u32 v11, s0, v4
	v_add_u32_e32 v8, v9, v8
	v_add_u32_e32 v8, v8, v10
	v_mul_lo_u32 v12, v4, v8
	v_mul_hi_u32 v13, v4, v11
	v_mul_hi_u32 v14, v4, v8
	v_mul_hi_u32 v10, v7, v11
	v_mul_lo_u32 v11, v7, v11
	v_mul_hi_u32 v9, v7, v8
	v_add_co_u32_e32 v12, vcc, v13, v12
	v_addc_co_u32_e32 v13, vcc, 0, v14, vcc
	v_mul_lo_u32 v8, v7, v8
	v_add_co_u32_e32 v11, vcc, v12, v11
	v_addc_co_u32_e32 v10, vcc, v13, v10, vcc
	v_addc_co_u32_e32 v9, vcc, 0, v9, vcc
	v_add_co_u32_e32 v8, vcc, v10, v8
	v_addc_co_u32_e32 v9, vcc, 0, v9, vcc
	v_add_co_u32_e32 v4, vcc, v4, v8
	v_addc_co_u32_e32 v9, vcc, v7, v9, vcc
	v_mad_u64_u32 v[7:8], s[0:1], v5, v9, 0
	v_mul_hi_u32 v10, v5, v4
	v_add_co_u32_e32 v11, vcc, v10, v7
	v_addc_co_u32_e32 v12, vcc, 0, v8, vcc
	v_mad_u64_u32 v[7:8], s[0:1], v6, v4, 0
	v_mad_u64_u32 v[9:10], s[0:1], v6, v9, 0
	v_add_co_u32_e32 v4, vcc, v11, v7
	v_addc_co_u32_e32 v4, vcc, v12, v8, vcc
	v_addc_co_u32_e32 v7, vcc, 0, v10, vcc
	v_add_co_u32_e32 v4, vcc, v4, v9
	v_addc_co_u32_e32 v9, vcc, 0, v7, vcc
	v_mul_lo_u32 v10, s25, v4
	v_mul_lo_u32 v11, s24, v9
	v_mad_u64_u32 v[7:8], s[0:1], s24, v4, 0
	v_add3_u32 v8, v8, v11, v10
	v_sub_u32_e32 v10, v6, v8
	v_mov_b32_e32 v11, s25
	v_sub_co_u32_e32 v7, vcc, v5, v7
	v_subb_co_u32_e64 v10, s[0:1], v10, v11, vcc
	v_subrev_co_u32_e64 v11, s[0:1], s24, v7
	v_subbrev_co_u32_e64 v10, s[0:1], 0, v10, s[0:1]
	v_cmp_le_u32_e64 s[0:1], s25, v10
	v_cndmask_b32_e64 v12, 0, -1, s[0:1]
	v_cmp_le_u32_e64 s[0:1], s24, v11
	v_cndmask_b32_e64 v11, 0, -1, s[0:1]
	v_cmp_eq_u32_e64 s[0:1], s25, v10
	v_cndmask_b32_e64 v10, v12, v11, s[0:1]
	v_add_co_u32_e64 v11, s[0:1], 2, v4
	v_addc_co_u32_e64 v12, s[0:1], 0, v9, s[0:1]
	v_add_co_u32_e64 v13, s[0:1], 1, v4
	v_addc_co_u32_e64 v14, s[0:1], 0, v9, s[0:1]
	v_subb_co_u32_e32 v8, vcc, v6, v8, vcc
	v_cmp_ne_u32_e64 s[0:1], 0, v10
	v_cmp_le_u32_e32 vcc, s25, v8
	v_cndmask_b32_e64 v10, v14, v12, s[0:1]
	v_cndmask_b32_e64 v12, 0, -1, vcc
	v_cmp_le_u32_e32 vcc, s24, v7
	v_cndmask_b32_e64 v7, 0, -1, vcc
	v_cmp_eq_u32_e32 vcc, s25, v8
	v_cndmask_b32_e32 v7, v12, v7, vcc
	v_cmp_ne_u32_e32 vcc, 0, v7
	v_cndmask_b32_e64 v7, v13, v11, s[0:1]
	v_cndmask_b32_e32 v61, v9, v10, vcc
	v_cndmask_b32_e32 v60, v4, v7, vcc
.LBB0_4:                                ;   in Loop: Header=BB0_2 Depth=1
	s_andn2_saveexec_b64 s[0:1], s[26:27]
	s_cbranch_execz .LBB0_6
; %bb.5:                                ;   in Loop: Header=BB0_2 Depth=1
	v_cvt_f32_u32_e32 v4, s24
	s_sub_i32 s26, 0, s24
	v_mov_b32_e32 v61, v3
	v_rcp_iflag_f32_e32 v4, v4
	v_mul_f32_e32 v4, 0x4f7ffffe, v4
	v_cvt_u32_f32_e32 v4, v4
	v_mul_lo_u32 v7, s26, v4
	v_mul_hi_u32 v7, v4, v7
	v_add_u32_e32 v4, v4, v7
	v_mul_hi_u32 v4, v5, v4
	v_mul_lo_u32 v7, v4, s24
	v_add_u32_e32 v8, 1, v4
	v_sub_u32_e32 v7, v5, v7
	v_subrev_u32_e32 v9, s24, v7
	v_cmp_le_u32_e32 vcc, s24, v7
	v_cndmask_b32_e32 v7, v7, v9, vcc
	v_cndmask_b32_e32 v4, v4, v8, vcc
	v_add_u32_e32 v8, 1, v4
	v_cmp_le_u32_e32 vcc, s24, v7
	v_cndmask_b32_e32 v60, v4, v8, vcc
.LBB0_6:                                ;   in Loop: Header=BB0_2 Depth=1
	s_or_b64 exec, exec, s[0:1]
	v_mul_lo_u32 v4, v61, s24
	v_mul_lo_u32 v9, v60, s25
	v_mad_u64_u32 v[7:8], s[0:1], v60, s24, 0
	s_load_dwordx2 s[0:1], s[6:7], 0x0
	s_load_dwordx2 s[24:25], s[2:3], 0x0
	v_add3_u32 v4, v8, v9, v4
	v_sub_co_u32_e32 v5, vcc, v5, v7
	v_subb_co_u32_e32 v4, vcc, v6, v4, vcc
	s_waitcnt lgkmcnt(0)
	v_mul_lo_u32 v6, s0, v4
	v_mul_lo_u32 v7, s1, v5
	v_mad_u64_u32 v[1:2], s[0:1], s0, v5, v[1:2]
	v_mul_lo_u32 v4, s24, v4
	v_mul_lo_u32 v8, s25, v5
	v_mad_u64_u32 v[58:59], s[0:1], s24, v5, v[58:59]
	s_add_u32 s22, s22, 1
	s_addc_u32 s23, s23, 0
	s_add_u32 s2, s2, 8
	v_add3_u32 v59, v8, v59, v4
	s_addc_u32 s3, s3, 0
	v_mov_b32_e32 v4, s14
	s_add_u32 s6, s6, 8
	v_mov_b32_e32 v5, s15
	s_addc_u32 s7, s7, 0
	v_cmp_ge_u64_e32 vcc, s[22:23], v[4:5]
	s_add_u32 s20, s20, 8
	v_add3_u32 v2, v7, v2, v6
	s_addc_u32 s21, s21, 0
	s_cbranch_vccnz .LBB0_9
; %bb.7:                                ;   in Loop: Header=BB0_2 Depth=1
	v_mov_b32_e32 v5, v60
	v_mov_b32_e32 v6, v61
	s_branch .LBB0_2
.LBB0_8:
	v_mov_b32_e32 v59, v2
	v_mov_b32_e32 v61, v6
	;; [unrolled: 1-line block ×4, first 2 shown]
.LBB0_9:
	s_load_dwordx2 s[4:5], s[4:5], 0x28
	s_lshl_b64 s[6:7], s[14:15], 3
	s_add_u32 s2, s18, s6
	s_addc_u32 s3, s19, s7
                                        ; implicit-def: $vgpr56
                                        ; implicit-def: $vgpr62
                                        ; implicit-def: $vgpr78
                                        ; implicit-def: $vgpr74
                                        ; implicit-def: $vgpr70
                                        ; implicit-def: $vgpr66
                                        ; implicit-def: $vgpr72
                                        ; implicit-def: $vgpr76
                                        ; implicit-def: $vgpr64
                                        ; implicit-def: $vgpr68
	s_waitcnt lgkmcnt(0)
	v_cmp_gt_u64_e64 s[0:1], s[4:5], v[60:61]
	v_cmp_le_u64_e32 vcc, s[4:5], v[60:61]
	s_and_saveexec_b64 s[4:5], vcc
	s_xor_b64 s[4:5], exec, s[4:5]
	s_cbranch_execz .LBB0_11
; %bb.10:
	s_mov_b32 s14, 0x199999a
	v_mul_hi_u32 v1, v0, s14
	v_mov_b32_e32 v57, 0
	v_mov_b32_e32 v63, v57
	;; [unrolled: 1-line block ×3, first 2 shown]
	v_mul_u32_u24_e32 v1, 0xa0, v1
	v_sub_u32_e32 v56, v0, v1
	v_add_u32_e32 v62, 0xa0, v56
	v_add_u32_e32 v78, 0x140, v56
	;; [unrolled: 1-line block ×4, first 2 shown]
	v_or_b32_e32 v66, 0x500, v56
	v_add_u32_e32 v72, 0x320, v56
	v_add_u32_e32 v76, 0x1e0, v56
	;; [unrolled: 1-line block ×4, first 2 shown]
	v_mov_b32_e32 v77, v57
	v_mov_b32_e32 v75, v57
	;; [unrolled: 1-line block ×7, first 2 shown]
                                        ; implicit-def: $vgpr0
                                        ; implicit-def: $vgpr1_vgpr2
.LBB0_11:
	s_andn2_saveexec_b64 s[4:5], s[4:5]
	s_cbranch_execz .LBB0_13
; %bb.12:
	s_add_u32 s6, s16, s6
	s_addc_u32 s7, s17, s7
	s_load_dwordx2 s[6:7], s[6:7], 0x0
	s_mov_b32 s14, 0x199999a
	v_mul_hi_u32 v5, v0, s14
	s_waitcnt lgkmcnt(0)
	v_mul_lo_u32 v6, s7, v60
	v_mul_lo_u32 v7, s6, v61
	v_mad_u64_u32 v[3:4], s[6:7], s6, v60, 0
	v_mul_u32_u24_e32 v5, 0xa0, v5
	v_sub_u32_e32 v56, v0, v5
	v_add3_u32 v4, v4, v7, v6
	v_lshlrev_b64 v[3:4], 4, v[3:4]
	v_mov_b32_e32 v0, s9
	v_add_co_u32_e32 v3, vcc, s8, v3
	v_addc_co_u32_e32 v4, vcc, v0, v4, vcc
	v_lshlrev_b64 v[0:1], 4, v[1:2]
	v_lshlrev_b32_e32 v79, 4, v56
	v_add_co_u32_e32 v57, vcc, v3, v0
	v_addc_co_u32_e32 v77, vcc, v4, v1, vcc
	v_add_co_u32_e32 v75, vcc, v57, v79
	v_or_b32_e32 v66, 0x500, v56
	v_addc_co_u32_e32 v76, vcc, 0, v77, vcc
	v_lshlrev_b32_e32 v8, 4, v66
	v_add_co_u32_e32 v24, vcc, v57, v8
	v_addc_co_u32_e32 v25, vcc, 0, v77, vcc
	s_movk_i32 s6, 0x1000
	v_add_co_u32_e32 v26, vcc, s6, v75
	s_movk_i32 s7, 0x5000
	v_addc_co_u32_e32 v27, vcc, 0, v76, vcc
	v_add_co_u32_e32 v28, vcc, s7, v75
	v_addc_co_u32_e32 v29, vcc, 0, v76, vcc
	s_movk_i32 s6, 0x2000
	v_add_co_u32_e32 v32, vcc, s6, v75
	s_movk_i32 s7, 0x3000
	v_addc_co_u32_e32 v33, vcc, 0, v76, vcc
	v_add_co_u32_e32 v40, vcc, s7, v75
	v_addc_co_u32_e32 v41, vcc, 0, v76, vcc
	s_movk_i32 s6, 0x4000
	v_add_co_u32_e32 v42, vcc, s6, v75
	v_addc_co_u32_e32 v43, vcc, 0, v76, vcc
	s_movk_i32 s6, 0x6000
	v_add_co_u32_e32 v48, vcc, s6, v75
	s_movk_i32 s7, 0x7000
	v_addc_co_u32_e32 v49, vcc, 0, v76, vcc
	v_add_co_u32_e32 v62, vcc, s7, v75
	v_addc_co_u32_e32 v63, vcc, 0, v76, vcc
	s_mov_b32 s6, 0x8000
	v_add_co_u32_e32 v71, vcc, s6, v75
	v_addc_co_u32_e32 v72, vcc, 0, v76, vcc
	s_mov_b32 s6, 0x9000
	v_add_co_u32_e32 v73, vcc, s6, v75
	global_load_dwordx4 v[0:3], v[75:76], off
	global_load_dwordx4 v[4:7], v[75:76], off offset:2560
	global_load_dwordx4 v[8:11], v[24:25], off
	global_load_dwordx4 v[12:15], v[28:29], off offset:2560
	global_load_dwordx4 v[16:19], v[26:27], off offset:1024
	;; [unrolled: 1-line block ×3, first 2 shown]
	s_nop 0
	global_load_dwordx4 v[24:27], v[32:33], off offset:2048
	global_load_dwordx4 v[28:31], v[40:41], off offset:512
	s_nop 0
	global_load_dwordx4 v[32:35], v[40:41], off offset:3072
	global_load_dwordx4 v[36:39], v[42:43], off offset:1536
	;; [unrolled: 3-line block ×4, first 2 shown]
	v_addc_co_u32_e32 v74, vcc, 0, v76, vcc
	global_load_dwordx4 v[62:65], v[71:72], off offset:3072
	global_load_dwordx4 v[67:70], v[73:74], off offset:1536
	v_or_b32_e32 v71, 0xa000, v79
	v_add_co_u32_e32 v71, vcc, v57, v71
	v_addc_co_u32_e32 v72, vcc, 0, v77, vcc
	v_add_co_u32_e32 v77, vcc, 0xa000, v75
	v_addc_co_u32_e32 v78, vcc, 0, v76, vcc
	v_add_co_u32_e32 v75, vcc, 0xb000, v75
	global_load_dwordx4 v[71:74], v[71:72], off
	v_addc_co_u32_e32 v76, vcc, 0, v76, vcc
	global_load_dwordx4 v[80:83], v[77:78], off offset:2560
	global_load_dwordx4 v[84:87], v[75:76], off offset:1024
	;; [unrolled: 1-line block ×3, first 2 shown]
	v_add_u32_e32 v92, 0, v79
	v_mov_b32_e32 v57, 0
	v_add_u32_e32 v78, 0x140, v56
	v_mov_b32_e32 v79, v57
	;; [unrolled: 2-line block ×3, first 2 shown]
	v_mov_b32_e32 v75, v57
	s_waitcnt vmcnt(19)
	ds_write_b128 v92, v[0:3]
	s_waitcnt vmcnt(18)
	ds_write_b128 v92, v[4:7] offset:2560
	s_waitcnt vmcnt(17)
	ds_write_b128 v92, v[8:11] offset:20480
	;; [unrolled: 2-line block ×8, first 2 shown]
	ds_write_b128 v92, v[12:15] offset:23040
	s_waitcnt vmcnt(9)
	ds_write_b128 v92, v[40:43] offset:25600
	s_waitcnt vmcnt(8)
	;; [unrolled: 2-line block ×6, first 2 shown]
	ds_write_b128 v92, v[67:70] offset:38400
	v_add_u32_e32 v62, 0xa0, v56
	v_mov_b32_e32 v63, v57
	v_add_u32_e32 v70, 0x3c0, v56
	v_add_u32_e32 v64, 0x460, v56
	v_mov_b32_e32 v65, v57
	v_mov_b32_e32 v67, v57
	v_add_u32_e32 v68, 0x5a0, v56
	v_mov_b32_e32 v69, v57
	s_waitcnt vmcnt(3)
	ds_write_b128 v92, v[71:74] offset:40960
	v_add_u32_e32 v74, 0x280, v56
	v_add_u32_e32 v72, 0x320, v56
	v_mov_b32_e32 v73, v57
	v_mov_b32_e32 v71, v57
	s_waitcnt vmcnt(2)
	ds_write_b128 v92, v[80:83] offset:43520
	s_waitcnt vmcnt(1)
	ds_write_b128 v92, v[84:87] offset:46080
	;; [unrolled: 2-line block ×3, first 2 shown]
.LBB0_13:
	s_or_b64 exec, exec, s[4:5]
	v_lshlrev_b32_e32 v87, 4, v56
	v_add_u32_e32 v86, 0, v87
	s_load_dwordx2 s[2:3], s[2:3], 0x0
	s_waitcnt lgkmcnt(0)
	s_barrier
	ds_read_b128 v[8:11], v86
	ds_read_b128 v[20:23], v86 offset:10240
	ds_read_b128 v[0:3], v86 offset:7680
	;; [unrolled: 1-line block ×7, first 2 shown]
	s_waitcnt lgkmcnt(6)
	v_add_f64 v[16:17], v[8:9], v[20:21]
	v_add_f64 v[18:19], v[10:11], v[22:23]
	ds_read_b128 v[32:35], v86 offset:40960
	s_waitcnt lgkmcnt(3)
	v_add_f64 v[84:85], v[24:25], v[28:29]
	v_add_f64 v[88:89], v[26:27], -v[30:31]
	v_add_f64 v[90:91], v[20:21], -v[24:25]
	;; [unrolled: 1-line block ×3, first 2 shown]
	v_add_f64 v[94:95], v[26:27], v[30:31]
	v_add_f64 v[40:41], v[16:17], v[24:25]
	v_add_f64 v[42:43], v[18:19], v[26:27]
	ds_read_b128 v[16:19], v86 offset:28160
	v_add_f64 v[96:97], v[24:25], -v[28:29]
	v_add_f64 v[98:99], v[22:23], -v[26:27]
	v_add_f64 v[100:101], v[26:27], -v[22:23]
	ds_read_b128 v[24:27], v86 offset:38400
	s_waitcnt lgkmcnt(2)
	v_add_f64 v[102:103], v[22:23], -v[34:35]
	v_add_f64 v[52:53], v[40:41], v[28:29]
	v_add_f64 v[54:55], v[42:43], v[30:31]
	ds_read_b128 v[40:43], v86 offset:5120
	v_add_f64 v[104:105], v[20:21], v[32:33]
	v_add_f64 v[106:107], v[20:21], -v[32:33]
	v_add_f64 v[108:109], v[22:23], v[34:35]
	v_add_f64 v[110:111], v[32:33], -v[28:29]
	s_waitcnt lgkmcnt(0)
	v_add_f64 v[80:81], v[40:41], v[36:37]
	v_add_f64 v[112:113], v[28:29], -v[32:33]
	ds_read_b128 v[20:23], v86 offset:2560
	ds_read_b128 v[44:47], v86 offset:12800
	v_add_f64 v[82:83], v[42:43], v[38:39]
	v_add_f64 v[114:115], v[34:35], -v[30:31]
	v_add_f64 v[116:117], v[30:31], -v[34:35]
	ds_read_b128 v[28:31], v86 offset:25600
	ds_read_b128 v[48:51], v86 offset:35840
	v_add_f64 v[118:119], v[52:53], v[32:33]
	v_add_f64 v[120:121], v[54:55], v[34:35]
	ds_read_b128 v[32:35], v86 offset:23040
	s_waitcnt lgkmcnt(2)
	v_add_f64 v[122:123], v[80:81], v[28:29]
	s_waitcnt lgkmcnt(1)
	v_add_f64 v[126:127], v[28:29], v[48:49]
	v_add_f64 v[134:135], v[30:31], v[50:51]
	;; [unrolled: 1-line block ×3, first 2 shown]
	ds_read_b128 v[80:83], v86 offset:46080
	s_mov_b32 s8, 0x134454ff
	s_mov_b32 s9, 0xbfee6f0e
	;; [unrolled: 1-line block ×3, first 2 shown]
	v_add_f64 v[122:123], v[122:123], v[48:49]
	s_waitcnt lgkmcnt(0)
	v_add_f64 v[142:143], v[38:39], -v[82:83]
	v_add_f64 v[146:147], v[36:37], -v[80:81]
	v_fma_f64 v[134:135], v[134:135], -0.5, v[42:43]
	v_fma_f64 v[126:127], v[126:127], -0.5, v[40:41]
	s_mov_b32 s4, s8
	v_add_f64 v[128:129], v[30:31], -v[50:51]
	v_add_f64 v[130:131], v[36:37], -v[28:29]
	;; [unrolled: 1-line block ×6, first 2 shown]
	v_add_f64 v[144:145], v[36:37], v[80:81]
	v_add_f64 v[36:37], v[38:39], v[82:83]
	;; [unrolled: 1-line block ×3, first 2 shown]
	v_add_f64 v[124:125], v[80:81], -v[48:49]
	v_add_f64 v[48:49], v[48:49], -v[80:81]
	;; [unrolled: 1-line block ×3, first 2 shown]
	v_add_f64 v[80:81], v[122:123], v[80:81]
	v_fma_f64 v[122:123], v[146:147], s[4:5], v[134:135]
	v_fma_f64 v[150:151], v[142:143], s[8:9], v[126:127]
	s_mov_b32 s14, 0x4755a5e
	s_mov_b32 s15, 0xbfe2cf23
	;; [unrolled: 1-line block ×4, first 2 shown]
	v_add_f64 v[124:125], v[130:131], v[124:125]
	v_add_f64 v[130:131], v[138:139], v[148:149]
	v_fma_f64 v[122:123], v[136:137], s[6:7], v[122:123]
	v_fma_f64 v[138:139], v[128:129], s[14:15], v[150:151]
	v_fma_f64 v[94:95], v[94:95], -0.5, v[10:11]
	s_mov_b32 s16, 0x372fe950
	s_mov_b32 s17, 0x3fd3c6ef
	v_add_f64 v[50:51], v[50:51], -v[82:83]
	v_add_f64 v[38:39], v[38:39], v[82:83]
	v_fma_f64 v[82:83], v[84:85], -0.5, v[8:9]
	v_fma_f64 v[84:85], v[104:105], -0.5, v[8:9]
	v_fma_f64 v[8:9], v[130:131], s[16:17], v[122:123]
	v_fma_f64 v[104:105], v[124:125], s[16:17], v[138:139]
	v_fma_f64 v[138:139], v[36:37], -0.5, v[42:43]
	v_fma_f64 v[36:37], v[106:107], s[4:5], v[94:95]
	v_fma_f64 v[122:123], v[144:145], -0.5, v[40:41]
	v_add_f64 v[90:91], v[90:91], v[110:111]
	v_fma_f64 v[108:109], v[108:109], -0.5, v[10:11]
	v_fma_f64 v[10:11], v[102:103], s[8:9], v[82:83]
	v_mul_f64 v[40:41], v[8:9], s[14:15]
	v_mul_f64 v[42:43], v[104:105], s[6:7]
	v_fma_f64 v[110:111], v[136:137], s[8:9], v[138:139]
	v_add_f64 v[98:99], v[98:99], v[114:115]
	v_fma_f64 v[36:37], v[96:97], s[6:7], v[36:37]
	s_mov_b32 s22, 0x9b97f4a8
	s_mov_b32 s23, 0x3fe9e377
	v_add_f64 v[140:141], v[140:141], v[50:51]
	v_fma_f64 v[104:105], v[104:105], s[22:23], v[40:41]
	v_fma_f64 v[114:115], v[8:9], s[22:23], v[42:43]
	;; [unrolled: 1-line block ×6, first 2 shown]
	v_add_f64 v[8:9], v[118:119], v[80:81]
	v_add_f64 v[36:37], v[118:119], -v[80:81]
	v_add_f64 v[80:81], v[132:133], v[48:49]
	v_add_f64 v[92:93], v[92:93], v[112:113]
	v_fma_f64 v[110:111], v[142:143], s[14:15], v[40:41]
	v_fma_f64 v[118:119], v[140:141], s[16:17], v[42:43]
	;; [unrolled: 1-line block ×3, first 2 shown]
	v_add_f64 v[42:43], v[50:51], v[114:115]
	v_add_f64 v[50:51], v[50:51], -v[114:115]
	v_fma_f64 v[114:115], v[136:137], s[4:5], v[138:139]
	v_add_f64 v[10:11], v[120:121], v[38:39]
	v_add_f64 v[38:39], v[120:121], -v[38:39]
	v_fma_f64 v[110:111], v[80:81], s[16:17], v[110:111]
	v_mul_f64 v[120:121], v[118:119], s[8:9]
	v_mul_f64 v[112:113], v[118:119], s[16:17]
	v_add_f64 v[40:41], v[144:145], v[104:105]
	v_add_f64 v[48:49], v[144:145], -v[104:105]
	v_fma_f64 v[104:105], v[88:89], s[4:5], v[84:85]
	v_fma_f64 v[84:85], v[88:89], s[8:9], v[84:85]
	;; [unrolled: 1-line block ×4, first 2 shown]
	v_add_f64 v[100:101], v[100:101], v[116:117]
	v_fma_f64 v[116:117], v[110:111], s[16:17], v[120:121]
	v_fma_f64 v[110:111], v[110:111], s[4:5], v[112:113]
	;; [unrolled: 1-line block ×16, first 2 shown]
	s_mov_b32 s19, 0xbfd3c6ef
	s_mov_b32 s18, s16
	v_fma_f64 v[118:119], v[80:81], s[16:17], v[118:119]
	v_fma_f64 v[108:109], v[106:107], s[14:15], v[108:109]
	;; [unrolled: 1-line block ×3, first 2 shown]
	v_mul_f64 v[96:97], v[114:115], s[8:9]
	v_mul_f64 v[106:107], v[114:115], s[18:19]
	v_fma_f64 v[88:89], v[88:89], s[6:7], v[82:83]
	v_fma_f64 v[82:83], v[128:129], s[6:7], v[102:103]
	v_fma_f64 v[102:103], v[130:131], s[16:17], v[112:113]
	v_fma_f64 v[92:93], v[100:101], s[16:17], v[92:93]
	v_fma_f64 v[100:101], v[100:101], s[16:17], v[108:109]
	s_mov_b32 s21, 0xbfe9e377
	v_fma_f64 v[96:97], v[118:119], s[18:19], v[96:97]
	v_fma_f64 v[106:107], v[118:119], s[4:5], v[106:107]
	s_mov_b32 s20, s22
	v_fma_f64 v[112:113], v[124:125], s[16:17], v[82:83]
	v_mul_f64 v[114:115], v[102:103], s[14:15]
	v_mul_f64 v[102:103], v[102:103], s[20:21]
	v_add_f64 v[80:81], v[104:105], v[116:117]
	v_add_f64 v[82:83], v[92:93], v[110:111]
	v_fma_f64 v[108:109], v[90:91], s[16:17], v[88:89]
	v_fma_f64 v[118:119], v[98:99], s[16:17], v[94:95]
	v_add_f64 v[90:91], v[92:93], -v[110:111]
	v_add_f64 v[92:93], v[84:85], v[96:97]
	v_add_f64 v[94:95], v[100:101], v[106:107]
	s_movk_i32 s24, 0x90
	v_add_f64 v[96:97], v[84:85], -v[96:97]
	v_mad_u32_u24 v84, v56, s24, v86
	ds_read_b128 v[52:55], v86 offset:33280
	ds_read_b128 v[28:31], v86 offset:43520
	v_fma_f64 v[114:115], v[112:113], s[20:21], v[114:115]
	v_fma_f64 v[112:113], v[112:113], s[6:7], v[102:103]
	s_waitcnt lgkmcnt(0)
	s_barrier
	ds_write_b128 v84, v[8:11]
	ds_write_b128 v84, v[40:43] offset:16
	ds_write_b128 v84, v[80:83] offset:32
	;; [unrolled: 1-line block ×3, first 2 shown]
	v_add_f64 v[8:9], v[20:21], v[44:45]
	v_add_f64 v[10:11], v[22:23], v[46:47]
	v_add_f64 v[98:99], v[100:101], -v[106:107]
	v_add_f64 v[100:101], v[108:109], v[114:115]
	v_add_f64 v[102:103], v[118:119], v[112:113]
	v_add_f64 v[88:89], v[104:105], -v[116:117]
	v_add_f64 v[104:105], v[108:109], -v[114:115]
	;; [unrolled: 1-line block ×3, first 2 shown]
	v_add_f64 v[8:9], v[8:9], v[32:33]
	v_add_f64 v[10:11], v[10:11], v[34:35]
	ds_write_b128 v84, v[100:103] offset:64
	ds_write_b128 v84, v[36:39] offset:80
	;; [unrolled: 1-line block ×6, first 2 shown]
	v_add_f64 v[84:85], v[0:1], v[12:13]
	v_add_f64 v[88:89], v[2:3], v[14:15]
	;; [unrolled: 1-line block ×6, first 2 shown]
	v_add_f64 v[38:39], v[34:35], -v[54:55]
	v_add_f64 v[40:41], v[44:45], -v[32:33]
	;; [unrolled: 1-line block ×3, first 2 shown]
	v_add_f64 v[48:49], v[34:35], v[54:55]
	v_add_f64 v[32:33], v[32:33], -v[52:53]
	v_add_f64 v[50:51], v[46:47], -v[34:35]
	;; [unrolled: 1-line block ×4, first 2 shown]
	v_add_f64 v[82:83], v[44:45], v[28:29]
	v_add_f64 v[44:45], v[44:45], -v[28:29]
	v_add_f64 v[46:47], v[46:47], v[30:31]
	v_add_f64 v[90:91], v[28:29], -v[52:53]
	v_add_f64 v[52:53], v[52:53], -v[28:29]
	;; [unrolled: 1-line block ×4, first 2 shown]
	v_add_f64 v[8:9], v[8:9], v[28:29]
	v_add_f64 v[10:11], v[10:11], v[30:31]
	;; [unrolled: 1-line block ×5, first 2 shown]
	v_add_f64 v[104:105], v[12:13], -v[4:5]
	v_fma_f64 v[94:95], v[94:95], -0.5, v[2:3]
	v_add_f64 v[96:97], v[12:13], -v[16:17]
	v_add_f64 v[98:99], v[16:17], -v[12:13]
	;; [unrolled: 1-line block ×5, first 2 shown]
	v_add_f64 v[28:29], v[28:29], v[24:25]
	v_add_f64 v[30:31], v[30:31], v[26:27]
	v_fma_f64 v[84:85], v[84:85], -0.5, v[0:1]
	v_add_f64 v[108:109], v[6:7], -v[26:27]
	v_fma_f64 v[110:111], v[104:105], s[4:5], v[94:95]
	v_add_f64 v[88:89], v[18:19], -v[26:27]
	v_add_f64 v[18:19], v[18:19], -v[14:15]
	v_add_f64 v[12:13], v[12:13], v[4:5]
	v_add_f64 v[14:15], v[14:15], v[6:7]
	v_add_f64 v[106:107], v[4:5], -v[24:25]
	v_add_f64 v[24:25], v[24:25], -v[4:5]
	;; [unrolled: 1-line block ×3, first 2 shown]
	v_add_f64 v[4:5], v[28:29], v[4:5]
	v_add_f64 v[6:7], v[30:31], v[6:7]
	v_fma_f64 v[28:29], v[102:103], s[8:9], v[84:85]
	v_fma_f64 v[30:31], v[36:37], -0.5, v[20:21]
	v_add_f64 v[36:37], v[16:17], v[108:109]
	v_fma_f64 v[16:17], v[100:101], s[6:7], v[110:111]
	v_fma_f64 v[20:21], v[82:83], -0.5, v[20:21]
	v_fma_f64 v[48:49], v[48:49], -0.5, v[22:23]
	v_add_f64 v[82:83], v[96:97], v[106:107]
	v_fma_f64 v[22:23], v[46:47], -0.5, v[22:23]
	v_fma_f64 v[28:29], v[88:89], s[14:15], v[28:29]
	v_fma_f64 v[46:47], v[12:13], -0.5, v[0:1]
	v_add_f64 v[40:41], v[40:41], v[90:91]
	v_fma_f64 v[12:13], v[36:37], s[16:17], v[16:17]
	v_fma_f64 v[14:15], v[14:15], -0.5, v[2:3]
	v_fma_f64 v[96:97], v[44:45], s[4:5], v[48:49]
	v_add_f64 v[50:51], v[50:51], v[92:93]
	v_add_f64 v[0:1], v[8:9], v[4:5]
	v_fma_f64 v[16:17], v[82:83], s[16:17], v[28:29]
	v_fma_f64 v[28:29], v[80:81], s[8:9], v[30:31]
	v_add_f64 v[4:5], v[8:9], -v[4:5]
	v_mul_f64 v[90:91], v[12:13], s[14:15]
	v_fma_f64 v[8:9], v[100:101], s[8:9], v[14:15]
	v_add_f64 v[24:25], v[98:99], v[24:25]
	v_fma_f64 v[98:99], v[100:101], s[4:5], v[14:15]
	v_fma_f64 v[94:95], v[104:105], s[8:9], v[94:95]
	v_mul_f64 v[106:107], v[16:17], s[6:7]
	v_fma_f64 v[28:29], v[38:39], s[14:15], v[28:29]
	v_add_f64 v[26:27], v[18:19], v[26:27]
	v_fma_f64 v[16:17], v[16:17], s[22:23], v[90:91]
	v_fma_f64 v[90:91], v[32:33], s[6:7], v[96:97]
	;; [unrolled: 1-line block ×4, first 2 shown]
	v_add_f64 v[2:3], v[10:11], v[6:7]
	v_fma_f64 v[92:93], v[12:13], s[22:23], v[106:107]
	v_add_f64 v[6:7], v[10:11], -v[6:7]
	v_fma_f64 v[46:47], v[88:89], s[8:9], v[46:47]
	v_fma_f64 v[12:13], v[40:41], s[16:17], v[28:29]
	;; [unrolled: 1-line block ×10, first 2 shown]
	v_add_f64 v[10:11], v[90:91], v[92:93]
	v_add_f64 v[14:15], v[90:91], -v[92:93]
	v_fma_f64 v[90:91], v[104:105], s[14:15], v[98:99]
	v_fma_f64 v[92:93], v[100:101], s[14:15], v[94:95]
	;; [unrolled: 1-line block ×10, first 2 shown]
	v_add_f64 v[42:43], v[42:43], v[52:53]
	v_fma_f64 v[18:19], v[24:25], s[16:17], v[18:19]
	v_mul_f64 v[52:53], v[8:9], s[8:9]
	v_add_f64 v[34:35], v[34:35], v[54:55]
	v_mul_f64 v[54:55], v[8:9], s[16:17]
	v_fma_f64 v[96:97], v[44:45], s[6:7], v[96:97]
	v_fma_f64 v[22:23], v[44:45], s[14:15], v[22:23]
	;; [unrolled: 1-line block ×3, first 2 shown]
	v_mul_f64 v[44:45], v[26:27], s[8:9]
	v_mul_f64 v[26:27], v[26:27], s[18:19]
	v_fma_f64 v[30:31], v[38:39], s[6:7], v[30:31]
	v_fma_f64 v[32:33], v[32:33], s[14:15], v[48:49]
	;; [unrolled: 1-line block ×3, first 2 shown]
	v_mul_f64 v[46:47], v[36:37], s[14:15]
	v_mul_f64 v[36:37], v[36:37], s[20:21]
	v_fma_f64 v[52:53], v[18:19], s[16:17], v[52:53]
	v_fma_f64 v[54:55], v[18:19], s[4:5], v[54:55]
	v_fma_f64 v[28:29], v[42:43], s[16:17], v[28:29]
	v_fma_f64 v[96:97], v[34:35], s[16:17], v[96:97]
	v_fma_f64 v[42:43], v[42:43], s[16:17], v[20:21]
	v_fma_f64 v[34:35], v[34:35], s[16:17], v[22:23]
	v_fma_f64 v[44:45], v[24:25], s[18:19], v[44:45]
	v_fma_f64 v[48:49], v[24:25], s[4:5], v[26:27]
	v_fma_f64 v[40:41], v[40:41], s[16:17], v[30:31]
	v_fma_f64 v[50:51], v[50:51], s[16:17], v[32:33]
	v_fma_f64 v[46:47], v[38:39], s[20:21], v[46:47]
	v_fma_f64 v[38:39], v[38:39], s[6:7], v[36:37]
	v_add_f64 v[8:9], v[12:13], v[16:17]
	v_add_f64 v[12:13], v[12:13], -v[16:17]
	v_add_f64 v[16:17], v[28:29], v[52:53]
	v_add_f64 v[18:19], v[96:97], v[54:55]
	;; [unrolled: 1-line block ×4, first 2 shown]
	v_add_f64 v[30:31], v[34:35], -v[48:49]
	v_add_f64 v[32:33], v[40:41], v[46:47]
	v_add_f64 v[34:35], v[50:51], v[38:39]
	v_add_f64 v[36:37], v[40:41], -v[46:47]
	v_mul_i32_i24_e32 v40, 10, v62
	v_add_f64 v[20:21], v[28:29], -v[52:53]
	v_add_f64 v[22:23], v[96:97], -v[54:55]
	v_lshl_add_u32 v88, v40, 4, 0
	s_movk_i32 s24, 0xcd
	v_add_f64 v[28:29], v[42:43], -v[44:45]
	v_add_f64 v[38:39], v[50:51], -v[38:39]
	ds_write_b128 v88, v[0:3]
	ds_write_b128 v88, v[8:11] offset:16
	ds_write_b128 v88, v[16:19] offset:32
	ds_write_b128 v88, v[24:27] offset:48
	ds_write_b128 v88, v[32:35] offset:64
	ds_write_b128 v88, v[4:7] offset:80
	ds_write_b128 v88, v[12:15] offset:96
	ds_write_b128 v88, v[20:23] offset:112
	ds_write_b128 v88, v[28:31] offset:128
	ds_write_b128 v88, v[36:39] offset:144
	v_mul_lo_u16_sdwa v0, v56, s24 dst_sel:DWORD dst_unused:UNUSED_PAD src0_sel:BYTE_0 src1_sel:DWORD
	v_lshrrev_b16_e32 v96, 11, v0
	v_mul_lo_u16_e32 v0, 10, v96
	v_sub_u16_e32 v97, v56, v0
	v_mov_b32_e32 v0, 9
	v_mul_u32_u24_sdwa v0, v97, v0 dst_sel:DWORD dst_unused:UNUSED_PAD src0_sel:BYTE_0 src1_sel:DWORD
	v_lshlrev_b32_e32 v28, 4, v0
	s_waitcnt lgkmcnt(0)
	s_barrier
	global_load_dwordx4 v[48:51], v28, s[12:13]
	global_load_dwordx4 v[0:3], v28, s[12:13] offset:16
	global_load_dwordx4 v[4:7], v28, s[12:13] offset:32
	;; [unrolled: 1-line block ×7, first 2 shown]
	s_mov_b32 s24, 0xcccd
	v_mul_u32_u24_sdwa v32, v62, s24 dst_sel:DWORD dst_unused:UNUSED_PAD src0_sel:WORD_0 src1_sel:DWORD
	global_load_dwordx4 v[28:31], v28, s[12:13] offset:128
	v_lshrrev_b32_e32 v94, 19, v32
	v_mul_lo_u16_e32 v32, 10, v94
	v_sub_u16_e32 v95, v62, v32
	v_mul_u32_u24_e32 v32, 9, v95
	v_lshlrev_b32_e32 v89, 4, v32
	global_load_dwordx4 v[32:35], v89, s[12:13]
	global_load_dwordx4 v[40:43], v89, s[12:13] offset:16
	global_load_dwordx4 v[36:39], v89, s[12:13] offset:32
	;; [unrolled: 1-line block ×8, first 2 shown]
	v_lshl_add_u32 v92, v78, 4, 0
	v_lshl_add_u32 v91, v74, 4, 0
	ds_read_b128 v[82:85], v92
	ds_read_b128 v[110:113], v91
	v_lshl_add_u32 v90, v70, 4, 0
	ds_read_b128 v[114:117], v90
	v_lshl_add_u32 v89, v66, 4, 0
	ds_read_b128 v[102:105], v86 offset:30720
	ds_read_b128 v[130:133], v86 offset:25600
	s_movk_i32 s24, 0xff70
	v_mad_i32_i24 v93, v62, s24, v88
	s_waitcnt vmcnt(17) lgkmcnt(4)
	v_mul_f64 v[80:81], v[84:85], v[50:51]
	s_waitcnt vmcnt(16) lgkmcnt(3)
	v_mul_f64 v[126:127], v[112:113], v[2:3]
	v_mul_f64 v[50:51], v[82:83], v[50:51]
	;; [unrolled: 1-line block ×3, first 2 shown]
	v_fma_f64 v[82:83], v[82:83], v[48:49], v[80:81]
	v_fma_f64 v[80:81], v[110:111], v[0:1], v[126:127]
	s_waitcnt vmcnt(15) lgkmcnt(2)
	v_mul_f64 v[110:111], v[116:117], v[6:7]
	ds_read_b128 v[126:129], v89
	v_mul_f64 v[6:7], v[114:115], v[6:7]
	v_fma_f64 v[136:137], v[112:113], v[0:1], -v[2:3]
	ds_read_b128 v[0:3], v86 offset:35840
	v_fma_f64 v[84:85], v[84:85], v[48:49], -v[50:51]
	s_waitcnt vmcnt(14) lgkmcnt(1)
	v_mul_f64 v[134:135], v[128:129], v[10:11]
	v_mul_f64 v[10:11], v[126:127], v[10:11]
	v_fma_f64 v[138:139], v[114:115], v[4:5], v[110:111]
	ds_read_b128 v[110:113], v86 offset:28160
	s_waitcnt vmcnt(13)
	v_mul_f64 v[114:115], v[132:133], v[14:15]
	v_mul_f64 v[14:15], v[130:131], v[14:15]
	v_fma_f64 v[140:141], v[116:117], v[4:5], -v[6:7]
	ds_read_b128 v[4:7], v86 offset:40960
	v_fma_f64 v[134:135], v[126:127], v[8:9], v[134:135]
	v_fma_f64 v[142:143], v[128:129], v[8:9], -v[10:11]
	s_waitcnt vmcnt(12)
	v_mul_f64 v[8:9], v[104:105], v[26:27]
	v_mul_f64 v[10:11], v[102:103], v[26:27]
	v_fma_f64 v[130:131], v[130:131], v[12:13], v[114:115]
	v_fma_f64 v[132:133], v[132:133], v[12:13], -v[14:15]
	ds_read_b128 v[114:117], v86 offset:33280
	s_waitcnt vmcnt(11) lgkmcnt(3)
	v_mul_f64 v[12:13], v[2:3], v[22:23]
	v_mul_f64 v[14:15], v[0:1], v[22:23]
	ds_read_b128 v[126:129], v86 offset:43520
	v_fma_f64 v[144:145], v[102:103], v[24:25], v[8:9]
	v_fma_f64 v[146:147], v[104:105], v[24:25], -v[10:11]
	ds_read_b128 v[102:105], v86 offset:38400
	s_waitcnt vmcnt(10) lgkmcnt(3)
	v_mul_f64 v[22:23], v[6:7], v[18:19]
	ds_read_b128 v[8:11], v86 offset:46080
	v_mul_f64 v[18:19], v[4:5], v[18:19]
	v_fma_f64 v[148:149], v[0:1], v[20:21], v[12:13]
	v_fma_f64 v[150:151], v[2:3], v[20:21], -v[14:15]
	ds_read_b128 v[0:3], v86 offset:7680
	ds_read_b128 v[12:15], v86 offset:12800
	s_waitcnt vmcnt(9) lgkmcnt(2)
	v_mul_f64 v[20:21], v[10:11], v[30:31]
	v_mul_f64 v[24:25], v[8:9], v[30:31]
	v_fma_f64 v[152:153], v[4:5], v[16:17], v[22:23]
	v_fma_f64 v[154:155], v[6:7], v[16:17], -v[18:19]
	s_waitcnt vmcnt(8) lgkmcnt(1)
	v_mul_f64 v[16:17], v[2:3], v[34:35]
	ds_read_b128 v[4:7], v86 offset:17920
	s_waitcnt vmcnt(7) lgkmcnt(1)
	v_mul_f64 v[30:31], v[12:13], v[42:43]
	v_mul_f64 v[22:23], v[0:1], v[34:35]
	;; [unrolled: 1-line block ×3, first 2 shown]
	v_fma_f64 v[42:43], v[8:9], v[28:29], v[20:21]
	ds_read_b128 v[18:21], v86 offset:23040
	s_waitcnt vmcnt(6) lgkmcnt(1)
	v_mul_f64 v[8:9], v[6:7], v[38:39]
	v_fma_f64 v[156:157], v[10:11], v[28:29], -v[24:25]
	v_fma_f64 v[10:11], v[0:1], v[32:33], v[16:17]
	v_fma_f64 v[0:1], v[14:15], v[40:41], -v[30:31]
	v_mul_f64 v[14:15], v[4:5], v[38:39]
	v_fma_f64 v[16:17], v[2:3], v[32:33], -v[22:23]
	v_fma_f64 v[2:3], v[12:13], v[40:41], v[26:27]
	s_waitcnt vmcnt(5) lgkmcnt(0)
	v_mul_f64 v[22:23], v[20:21], v[46:47]
	v_fma_f64 v[12:13], v[4:5], v[36:37], v[8:9]
	v_mul_f64 v[8:9], v[18:19], v[46:47]
	s_waitcnt vmcnt(3)
	v_mul_f64 v[30:31], v[116:117], v[100:101]
	ds_read_b128 v[38:41], v86
	v_fma_f64 v[26:27], v[6:7], v[36:37], -v[14:15]
	ds_read_b128 v[34:37], v86 offset:48640
	v_mul_f64 v[24:25], v[112:113], v[54:55]
	v_mul_f64 v[28:29], v[110:111], v[54:55]
	;; [unrolled: 1-line block ×3, first 2 shown]
	v_fma_f64 v[4:5], v[18:19], v[44:45], v[22:23]
	v_fma_f64 v[6:7], v[20:21], v[44:45], -v[8:9]
	v_fma_f64 v[14:15], v[114:115], v[98:99], v[30:31]
	s_waitcnt vmcnt(2)
	v_mul_f64 v[20:21], v[102:103], v[108:109]
	s_waitcnt vmcnt(1)
	v_mul_f64 v[30:31], v[126:127], v[120:121]
	s_waitcnt vmcnt(0) lgkmcnt(0)
	v_mul_f64 v[44:45], v[36:37], v[124:125]
	v_mul_f64 v[46:47], v[34:35], v[124:125]
	v_add_f64 v[54:55], v[40:41], v[136:137]
	v_mul_f64 v[22:23], v[104:105], v[108:109]
	v_fma_f64 v[8:9], v[116:117], v[98:99], -v[32:33]
	v_fma_f64 v[18:19], v[110:111], v[52:53], v[24:25]
	v_fma_f64 v[32:33], v[104:105], v[106:107], -v[20:21]
	v_fma_f64 v[20:21], v[128:129], v[118:119], -v[30:31]
	v_fma_f64 v[30:31], v[34:35], v[122:123], v[44:45]
	v_fma_f64 v[34:35], v[36:37], v[122:123], -v[46:47]
	v_add_f64 v[46:47], v[54:55], v[142:143]
	v_add_f64 v[54:55], v[134:135], v[144:145]
	v_fma_f64 v[24:25], v[102:103], v[106:107], v[22:23]
	v_add_f64 v[104:105], v[132:133], v[150:151]
	v_fma_f64 v[28:29], v[112:113], v[52:53], -v[28:29]
	v_mul_f64 v[22:23], v[128:129], v[120:121]
	v_add_f64 v[108:109], v[138:139], -v[42:43]
	v_add_f64 v[112:113], v[140:141], -v[156:157]
	v_add_f64 v[100:101], v[142:143], v[146:147]
	v_fma_f64 v[106:107], v[54:55], -0.5, v[38:39]
	v_add_f64 v[54:55], v[130:131], v[148:149]
	v_fma_f64 v[104:105], v[104:105], -0.5, v[84:85]
	v_add_f64 v[102:103], v[136:137], v[154:155]
	v_fma_f64 v[22:23], v[126:127], v[118:119], v[22:23]
	v_add_f64 v[114:115], v[138:139], -v[130:131]
	v_add_f64 v[116:117], v[42:43], -v[148:149]
	;; [unrolled: 1-line block ×4, first 2 shown]
	v_fma_f64 v[110:111], v[54:55], -0.5, v[82:83]
	v_fma_f64 v[122:123], v[108:109], s[4:5], v[104:105]
	v_add_f64 v[36:37], v[84:85], v[140:141]
	v_add_f64 v[118:119], v[140:141], -v[132:133]
	v_add_f64 v[120:121], v[156:157], -v[150:151]
	v_fma_f64 v[100:101], v[100:101], -0.5, v[40:41]
	v_fma_f64 v[102:103], v[102:103], -0.5, v[40:41]
	v_add_f64 v[114:115], v[114:115], v[116:117]
	v_fma_f64 v[126:127], v[112:113], s[8:9], v[110:111]
	v_fma_f64 v[40:41], v[124:125], s[6:7], v[122:123]
	v_add_f64 v[122:123], v[80:81], -v[134:135]
	v_add_f64 v[166:167], v[140:141], v[156:157]
	v_add_f64 v[52:53], v[38:39], v[80:81]
	;; [unrolled: 1-line block ×5, first 2 shown]
	v_fma_f64 v[116:117], v[128:129], s[14:15], v[126:127]
	v_add_f64 v[126:127], v[152:153], -v[144:145]
	v_add_f64 v[120:121], v[136:137], -v[154:155]
	;; [unrolled: 1-line block ×3, first 2 shown]
	v_fma_f64 v[84:85], v[166:167], -0.5, v[84:85]
	v_add_f64 v[44:45], v[52:53], v[134:135]
	v_add_f64 v[52:53], v[98:99], v[130:131]
	;; [unrolled: 1-line block ×7, first 2 shown]
	v_add_f64 v[160:161], v[136:137], -v[142:143]
	v_fma_f64 v[40:41], v[118:119], s[16:17], v[40:41]
	v_add_f64 v[162:163], v[154:155], -v[146:147]
	v_fma_f64 v[164:165], v[120:121], s[8:9], v[106:107]
	;; [unrolled: 2-line block ×3, first 2 shown]
	v_add_f64 v[172:173], v[134:135], -v[144:145]
	v_add_f64 v[132:133], v[132:133], -v[140:141]
	v_fma_f64 v[82:83], v[126:127], -0.5, v[82:83]
	v_add_f64 v[126:127], v[150:151], -v[156:157]
	v_fma_f64 v[140:141], v[124:125], s[8:9], v[84:85]
	v_add_f64 v[52:53], v[52:53], v[148:149]
	v_fma_f64 v[98:99], v[98:99], -0.5, v[38:39]
	v_add_f64 v[46:47], v[46:47], v[154:155]
	v_add_f64 v[54:55], v[36:37], v[156:157]
	v_fma_f64 v[116:117], v[114:115], s[16:17], v[116:117]
	v_mul_f64 v[174:175], v[40:41], s[14:15]
	v_add_f64 v[160:161], v[160:161], v[162:163]
	v_mul_f64 v[40:41], v[40:41], s[22:23]
	v_fma_f64 v[162:163], v[168:169], s[14:15], v[164:165]
	v_fma_f64 v[164:165], v[172:173], s[6:7], v[170:171]
	v_add_f64 v[130:131], v[130:131], -v[138:139]
	v_add_f64 v[138:139], v[148:149], -v[42:43]
	v_fma_f64 v[148:149], v[128:129], s[4:5], v[82:83]
	v_add_f64 v[126:127], v[132:133], v[126:127]
	v_fma_f64 v[132:133], v[108:109], s[6:7], v[140:141]
	v_add_f64 v[52:53], v[52:53], v[42:43]
	v_add_f64 v[38:39], v[46:47], v[54:55]
	v_fma_f64 v[166:167], v[116:117], s[22:23], v[174:175]
	v_fma_f64 v[116:117], v[116:117], s[6:7], v[40:41]
	;; [unrolled: 1-line block ×3, first 2 shown]
	v_add_f64 v[42:43], v[46:47], -v[54:55]
	v_add_f64 v[130:131], v[130:131], v[138:139]
	v_fma_f64 v[54:55], v[112:113], s[14:15], v[148:149]
	v_fma_f64 v[132:133], v[126:127], s[16:17], v[132:133]
	v_add_f64 v[80:81], v[134:135], -v[80:81]
	v_add_f64 v[134:135], v[144:145], -v[152:153]
	v_fma_f64 v[138:139], v[168:169], s[4:5], v[98:99]
	v_fma_f64 v[98:99], v[168:169], s[8:9], v[98:99]
	;; [unrolled: 1-line block ×3, first 2 shown]
	v_add_f64 v[44:45], v[44:45], v[144:145]
	v_add_f64 v[46:47], v[156:157], v[116:117]
	v_add_f64 v[136:137], v[142:143], -v[136:137]
	v_fma_f64 v[142:143], v[130:131], s[16:17], v[54:55]
	v_mul_f64 v[144:145], v[132:133], s[8:9]
	v_add_f64 v[54:55], v[156:157], -v[116:117]
	v_mul_f64 v[116:117], v[132:133], s[16:17]
	v_add_f64 v[80:81], v[80:81], v[134:135]
	v_fma_f64 v[132:133], v[120:121], s[14:15], v[138:139]
	v_fma_f64 v[98:99], v[120:121], s[6:7], v[98:99]
	;; [unrolled: 1-line block ×5, first 2 shown]
	v_add_f64 v[140:141], v[146:147], -v[154:155]
	v_fma_f64 v[108:109], v[172:173], s[8:9], v[102:103]
	v_fma_f64 v[102:103], v[172:173], s[4:5], v[102:103]
	;; [unrolled: 1-line block ×10, first 2 shown]
	v_add_f64 v[134:135], v[136:137], v[140:141]
	v_fma_f64 v[106:107], v[158:159], s[6:7], v[108:109]
	v_fma_f64 v[80:81], v[128:129], s[6:7], v[80:81]
	;; [unrolled: 1-line block ×5, first 2 shown]
	v_mul_f64 v[108:109], v[84:85], s[8:9]
	v_mul_f64 v[84:85], v[84:85], s[18:19]
	v_fma_f64 v[104:105], v[168:169], s[6:7], v[104:105]
	v_fma_f64 v[100:101], v[172:173], s[14:15], v[100:101]
	;; [unrolled: 1-line block ×3, first 2 shown]
	v_mul_f64 v[110:111], v[98:99], s[14:15]
	v_mul_f64 v[98:99], v[98:99], s[20:21]
	v_add_f64 v[44:45], v[44:45], v[152:153]
	v_fma_f64 v[150:151], v[122:123], s[16:17], v[162:163]
	v_fma_f64 v[136:137], v[142:143], s[16:17], v[144:145]
	;; [unrolled: 1-line block ×11, first 2 shown]
	v_add_f64 v[36:37], v[44:45], v[52:53]
	v_add_f64 v[40:41], v[44:45], -v[52:53]
	v_add_f64 v[44:45], v[150:151], v[166:167]
	v_add_f64 v[80:81], v[132:133], v[136:137]
	;; [unrolled: 1-line block ×5, first 2 shown]
	v_add_f64 v[100:101], v[106:107], -v[116:117]
	v_add_f64 v[106:107], v[138:139], -v[108:109]
	;; [unrolled: 1-line block ×3, first 2 shown]
	v_add_f64 v[110:111], v[114:115], v[120:121]
	v_add_f64 v[112:113], v[118:119], v[122:123]
	v_mov_b32_e32 v84, 4
	v_lshlrev_b32_sdwa v84, v84, v97 dst_sel:DWORD dst_unused:UNUSED_PAD src0_sel:DWORD src1_sel:BYTE_0
	v_mul_u32_u24_e32 v85, 0x640, v96
	v_add3_u32 v84, 0, v85, v84
	ds_read_b128 v[48:51], v93
	v_add_f64 v[52:53], v[150:151], -v[166:167]
	s_waitcnt lgkmcnt(0)
	s_barrier
	ds_write_b128 v84, v[36:39]
	ds_write_b128 v84, v[44:47] offset:160
	ds_write_b128 v84, v[80:83] offset:320
	;; [unrolled: 1-line block ×5, first 2 shown]
	v_add_f64 v[44:45], v[28:29], v[32:33]
	v_add_f64 v[98:99], v[132:133], -v[136:137]
	v_add_f64 v[80:81], v[12:13], -v[30:31]
	ds_write_b128 v84, v[52:55] offset:960
	v_add_f64 v[54:55], v[18:19], v[24:25]
	v_add_f64 v[114:115], v[114:115], -v[120:121]
	v_add_f64 v[116:117], v[118:119], -v[122:123]
	v_add_f64 v[82:83], v[16:17], v[26:27]
	v_fma_f64 v[44:45], v[44:45], -0.5, v[16:17]
	ds_write_b128 v84, v[98:101] offset:1120
	ds_write_b128 v84, v[106:109] offset:1280
	;; [unrolled: 1-line block ×3, first 2 shown]
	v_add_f64 v[84:85], v[26:27], -v[28:29]
	v_add_f64 v[96:97], v[34:35], -v[32:33]
	v_fma_f64 v[54:55], v[54:55], -0.5, v[10:11]
	v_add_f64 v[98:99], v[26:27], -v[34:35]
	v_fma_f64 v[100:101], v[80:81], s[4:5], v[44:45]
	v_add_f64 v[102:103], v[18:19], -v[24:25]
	v_add_f64 v[40:41], v[6:7], v[8:9]
	v_add_f64 v[52:53], v[0:1], v[20:21]
	v_add_f64 v[82:83], v[82:83], v[28:29]
	v_add_f64 v[104:105], v[12:13], -v[18:19]
	v_add_f64 v[106:107], v[30:31], -v[24:25]
	v_add_f64 v[84:85], v[84:85], v[96:97]
	v_fma_f64 v[96:97], v[98:99], s[8:9], v[54:55]
	v_add_f64 v[108:109], v[28:29], -v[32:33]
	v_fma_f64 v[100:101], v[102:103], s[6:7], v[100:101]
	v_add_f64 v[36:37], v[4:5], v[14:15]
	v_add_f64 v[38:39], v[2:3], v[22:23]
	;; [unrolled: 1-line block ×3, first 2 shown]
	v_fma_f64 v[40:41], v[40:41], -0.5, v[50:51]
	v_fma_f64 v[50:51], v[52:53], -0.5, v[50:51]
	v_add_f64 v[52:53], v[82:83], v[32:33]
	v_add_f64 v[82:83], v[104:105], v[106:107]
	v_fma_f64 v[96:97], v[108:109], s[14:15], v[96:97]
	v_fma_f64 v[100:101], v[84:85], s[16:17], v[100:101]
	v_add_f64 v[42:43], v[48:49], v[2:3]
	v_fma_f64 v[36:37], v[36:37], -0.5, v[48:49]
	v_fma_f64 v[38:39], v[38:39], -0.5, v[48:49]
	v_add_f64 v[48:49], v[10:11], v[12:13]
	v_add_f64 v[104:105], v[2:3], -v[4:5]
	v_add_f64 v[106:107], v[22:23], -v[14:15]
	;; [unrolled: 1-line block ×4, first 2 shown]
	v_fma_f64 v[96:97], v[82:83], s[16:17], v[96:97]
	v_mul_f64 v[114:115], v[100:101], s[14:15]
	v_mul_f64 v[100:101], v[100:101], s[22:23]
	v_add_f64 v[116:117], v[26:27], v[34:35]
	v_add_f64 v[48:49], v[48:49], v[18:19]
	;; [unrolled: 1-line block ×6, first 2 shown]
	v_fma_f64 v[112:113], v[96:97], s[22:23], v[114:115]
	v_fma_f64 v[96:97], v[96:97], s[6:7], v[100:101]
	v_add_f64 v[100:101], v[12:13], v[30:31]
	v_fma_f64 v[114:115], v[116:117], -0.5, v[16:17]
	v_add_f64 v[48:49], v[48:49], v[24:25]
	v_add_f64 v[110:111], v[2:3], -v[22:23]
	v_add_f64 v[26:27], v[28:29], -v[26:27]
	v_add_f64 v[32:33], v[32:33], -v[34:35]
	v_add_f64 v[52:53], v[52:53], v[34:35]
	v_add_f64 v[34:35], v[4:5], -v[14:15]
	v_fma_f64 v[100:101], v[100:101], -0.5, v[10:11]
	v_fma_f64 v[122:123], v[102:103], s[8:9], v[114:115]
	v_add_f64 v[18:19], v[18:19], -v[12:13]
	v_add_f64 v[24:25], v[24:25], -v[30:31]
	v_add_f64 v[42:43], v[42:43], v[14:15]
	v_add_f64 v[46:47], v[46:47], v[8:9]
	;; [unrolled: 1-line block ×3, first 2 shown]
	v_add_f64 v[118:119], v[0:1], -v[20:21]
	v_fma_f64 v[28:29], v[110:111], s[4:5], v[40:41]
	v_add_f64 v[26:27], v[26:27], v[32:33]
	v_fma_f64 v[30:31], v[108:109], s[4:5], v[100:101]
	v_fma_f64 v[32:33], v[80:81], s[6:7], v[122:123]
	v_add_f64 v[120:121], v[6:7], -v[8:9]
	v_add_f64 v[2:3], v[4:5], -v[2:3]
	;; [unrolled: 1-line block ×4, first 2 shown]
	v_add_f64 v[14:15], v[18:19], v[24:25]
	v_add_f64 v[8:9], v[8:9], -v[20:21]
	v_fma_f64 v[24:25], v[34:35], s[8:9], v[50:51]
	v_add_f64 v[42:43], v[42:43], v[22:23]
	v_add_f64 v[46:47], v[46:47], v[20:21]
	v_fma_f64 v[116:117], v[118:119], s[8:9], v[36:37]
	v_fma_f64 v[28:29], v[34:35], s[6:7], v[28:29]
	;; [unrolled: 1-line block ×4, first 2 shown]
	v_add_f64 v[8:9], v[0:1], v[8:9]
	v_fma_f64 v[24:25], v[110:111], s[6:7], v[24:25]
	v_add_f64 v[10:11], v[42:43], v[48:49]
	v_add_f64 v[12:13], v[46:47], v[52:53]
	v_add_f64 v[16:17], v[42:43], -v[48:49]
	v_fma_f64 v[42:43], v[120:121], s[14:15], v[116:117]
	v_fma_f64 v[28:29], v[106:107], s[16:17], v[28:29]
	v_add_f64 v[30:31], v[2:3], v[4:5]
	v_fma_f64 v[4:5], v[14:15], s[16:17], v[6:7]
	v_mul_f64 v[6:7], v[18:19], s[8:9]
	v_mul_f64 v[32:33], v[18:19], s[16:17]
	v_add_f64 v[18:19], v[46:47], -v[52:53]
	v_fma_f64 v[46:47], v[102:103], s[4:5], v[114:115]
	v_fma_f64 v[52:53], v[8:9], s[16:17], v[24:25]
	;; [unrolled: 1-line block ×4, first 2 shown]
	v_add_f64 v[2:3], v[28:29], v[96:97]
	v_fma_f64 v[42:43], v[4:5], s[16:17], v[6:7]
	v_add_f64 v[6:7], v[28:29], -v[96:97]
	v_fma_f64 v[28:29], v[108:109], s[8:9], v[100:101]
	v_fma_f64 v[44:45], v[80:81], s[14:15], v[46:47]
	;; [unrolled: 1-line block ×17, first 2 shown]
	v_mul_f64 v[28:29], v[26:27], s[8:9]
	v_mul_f64 v[26:27], v[26:27], s[18:19]
	v_fma_f64 v[36:37], v[120:121], s[6:7], v[36:37]
	v_fma_f64 v[34:35], v[34:35], s[14:15], v[40:41]
	;; [unrolled: 1-line block ×3, first 2 shown]
	v_mul_f64 v[44:45], v[24:25], s[14:15]
	v_mul_f64 v[24:25], v[24:25], s[20:21]
	v_fma_f64 v[32:33], v[4:5], s[4:5], v[32:33]
	v_fma_f64 v[48:49], v[30:31], s[16:17], v[22:23]
	v_fma_f64 v[38:39], v[30:31], s[16:17], v[38:39]
	v_fma_f64 v[8:9], v[8:9], s[16:17], v[46:47]
	v_fma_f64 v[46:47], v[14:15], s[18:19], v[28:29]
	v_fma_f64 v[14:15], v[14:15], s[4:5], v[26:27]
	v_fma_f64 v[50:51], v[104:105], s[16:17], v[36:37]
	v_fma_f64 v[54:55], v[106:107], s[16:17], v[34:35]
	v_fma_f64 v[44:45], v[40:41], s[20:21], v[44:45]
	v_fma_f64 v[80:81], v[40:41], s[6:7], v[24:25]
	v_add_f64 v[0:1], v[20:21], v[112:113]
	v_add_f64 v[4:5], v[20:21], -v[112:113]
	v_add_f64 v[20:21], v[48:49], v[42:43]
	v_add_f64 v[22:23], v[52:53], v[32:33]
	;; [unrolled: 1-line block ×4, first 2 shown]
	v_add_f64 v[26:27], v[52:53], -v[32:33]
	v_add_f64 v[32:33], v[38:39], -v[46:47]
	v_add_f64 v[36:37], v[50:51], v[44:45]
	v_add_f64 v[38:39], v[54:55], v[80:81]
	v_add_f64 v[34:35], v[8:9], -v[14:15]
	v_mul_u32_u24_e32 v8, 0x640, v94
	v_lshlrev_b32_e32 v9, 4, v95
	v_add_f64 v[24:25], v[48:49], -v[42:43]
	v_add3_u32 v8, 0, v8, v9
	s_movk_i32 s4, 0x64
	v_add_f64 v[40:41], v[50:51], -v[44:45]
	v_add_f64 v[42:43], v[54:55], -v[80:81]
	ds_write_b128 v8, v[10:13]
	ds_write_b128 v8, v[0:3] offset:160
	ds_write_b128 v8, v[20:23] offset:320
	;; [unrolled: 1-line block ×9, first 2 shown]
	v_add_u32_e32 v0, 0xffffff9c, v56
	v_cmp_gt_u32_e32 vcc, s4, v56
	v_cndmask_b32_e32 v8, v0, v56, vcc
	v_mul_i32_i24_e32 v0, 3, v8
	v_mov_b32_e32 v1, 0
	v_lshlrev_b64 v[2:3], 4, v[0:1]
	v_mov_b32_e32 v4, s13
	v_add_co_u32_e32 v2, vcc, s12, v2
	v_addc_co_u32_e32 v3, vcc, v4, v3, vcc
	s_waitcnt lgkmcnt(0)
	s_barrier
	global_load_dwordx4 v[11:14], v[2:3], off offset:1440
	global_load_dwordx4 v[15:18], v[2:3], off offset:1456
	;; [unrolled: 1-line block ×3, first 2 shown]
	v_lshrrev_b16_e32 v0, 2, v62
	v_mul_u32_u24_e32 v0, 0x147b, v0
	v_lshrrev_b32_e32 v2, 17, v0
	v_mul_lo_u16_e32 v0, 0x64, v2
	v_sub_u16_e32 v3, v62, v0
	v_mul_u32_u24_e32 v0, 3, v3
	v_lshlrev_b32_e32 v0, 4, v0
	global_load_dwordx4 v[23:26], v0, s[12:13] offset:1440
	global_load_dwordx4 v[31:34], v0, s[12:13] offset:1456
	;; [unrolled: 1-line block ×3, first 2 shown]
	v_lshrrev_b16_e32 v0, 2, v78
	v_mul_u32_u24_e32 v0, 0x147b, v0
	v_lshrrev_b32_e32 v7, 17, v0
	v_mul_lo_u16_e32 v0, 0x64, v7
	v_sub_u16_e32 v6, v78, v0
	v_mul_u32_u24_e32 v0, 3, v6
	v_lshlrev_b32_e32 v9, 4, v0
	global_load_dwordx4 v[39:42], v9, s[12:13] offset:1440
	global_load_dwordx4 v[43:46], v9, s[12:13] offset:1456
	v_lshrrev_b16_e32 v0, 2, v76
	global_load_dwordx4 v[47:50], v9, s[12:13] offset:1472
	v_mul_u32_u24_e32 v0, 0x147b, v0
	v_lshrrev_b32_e32 v5, 17, v0
	v_mul_lo_u16_e32 v0, 0x64, v5
	v_sub_u16_e32 v0, v76, v0
	v_mul_u32_u24_e32 v9, 3, v0
	v_lshlrev_b32_e32 v9, 4, v9
	global_load_dwordx4 v[51:54], v9, s[12:13] offset:1440
	global_load_dwordx4 v[80:83], v9, s[12:13] offset:1456
	global_load_dwordx4 v[94:97], v9, s[12:13] offset:1472
	v_lshrrev_b16_e32 v9, 2, v74
	v_mul_u32_u24_e32 v9, 0x147b, v9
	v_lshrrev_b32_e32 v9, 17, v9
	v_mul_lo_u16_e32 v10, 0x64, v9
	v_sub_u16_e32 v10, v74, v10
	v_mul_u32_u24_e32 v27, 3, v10
	v_lshl_add_u32 v30, v72, 4, 0
	v_lshlrev_b32_e32 v27, 4, v27
	global_load_dwordx4 v[98:101], v27, s[12:13] offset:1440
	ds_read_b128 v[102:105], v30
	global_load_dwordx4 v[106:109], v27, s[12:13] offset:1456
	global_load_dwordx4 v[110:113], v27, s[12:13] offset:1472
	ds_read_b128 v[118:121], v86 offset:25600
	ds_read_b128 v[126:129], v86 offset:38400
	;; [unrolled: 1-line block ×3, first 2 shown]
	ds_read_b128 v[114:117], v91
	s_movk_i32 s4, 0x63
	v_cmp_lt_u32_e32 vcc, s4, v56
	v_lshlrev_b32_e32 v8, 4, v8
	v_mul_u32_u24_e32 v2, 0x1900, v2
	v_lshlrev_b32_e32 v3, 4, v3
	v_add3_u32 v2, 0, v2, v3
	v_lshlrev_b32_e32 v6, 4, v6
	v_lshlrev_b32_e32 v0, 4, v0
	s_movk_i32 s5, 0x1000
	s_movk_i32 s4, 0x1860
	;; [unrolled: 1-line block ×3, first 2 shown]
	s_waitcnt vmcnt(14) lgkmcnt(4)
	v_mul_f64 v[27:28], v[104:105], v[13:14]
	v_mul_f64 v[13:14], v[102:103], v[13:14]
	v_fma_f64 v[27:28], v[102:103], v[11:12], v[27:28]
	v_fma_f64 v[130:131], v[104:105], v[11:12], -v[13:14]
	ds_read_b128 v[11:14], v86 offset:40960
	s_waitcnt vmcnt(12) lgkmcnt(3)
	v_mul_f64 v[132:133], v[128:129], v[21:22]
	ds_read_b128 v[102:105], v86 offset:15360
	v_mul_f64 v[84:85], v[120:121], v[17:18]
	v_mul_f64 v[17:18], v[118:119], v[17:18]
	;; [unrolled: 1-line block ×3, first 2 shown]
	v_fma_f64 v[126:127], v[126:127], v[19:20], v[132:133]
	s_waitcnt vmcnt(9) lgkmcnt(1)
	v_mul_f64 v[132:133], v[13:14], v[37:38]
	v_fma_f64 v[84:85], v[118:119], v[15:16], v[84:85]
	v_fma_f64 v[118:119], v[120:121], v[15:16], -v[17:18]
	s_waitcnt lgkmcnt(0)
	v_mul_f64 v[120:121], v[104:105], v[25:26]
	v_mul_f64 v[25:26], v[102:103], v[25:26]
	v_fma_f64 v[128:129], v[128:129], v[19:20], -v[21:22]
	ds_read_b128 v[19:22], v86 offset:30720
	v_mul_f64 v[134:135], v[124:125], v[33:34]
	v_mul_f64 v[33:34], v[122:123], v[33:34]
	ds_read_b128 v[15:18], v86 offset:17920
	v_mul_f64 v[37:38], v[11:12], v[37:38]
	v_fma_f64 v[120:121], v[102:103], v[23:24], v[120:121]
	v_fma_f64 v[136:137], v[104:105], v[23:24], -v[25:26]
	ds_read_b128 v[23:26], v86 offset:43520
	v_fma_f64 v[132:133], v[11:12], v[35:36], v[132:133]
	v_fma_f64 v[122:123], v[122:123], v[31:32], v[134:135]
	v_fma_f64 v[124:125], v[124:125], v[31:32], -v[33:34]
	s_waitcnt vmcnt(8) lgkmcnt(1)
	v_mul_f64 v[31:32], v[17:18], v[41:42]
	v_mul_f64 v[41:42], v[15:16], v[41:42]
	v_fma_f64 v[134:135], v[13:14], v[35:36], -v[37:38]
	ds_read_b128 v[11:14], v92
	s_waitcnt vmcnt(7)
	v_mul_f64 v[138:139], v[21:22], v[45:46]
	v_mul_f64 v[45:46], v[19:20], v[45:46]
	v_fma_f64 v[140:141], v[15:16], v[39:40], v[31:32]
	s_waitcnt vmcnt(6) lgkmcnt(1)
	v_mul_f64 v[15:16], v[25:26], v[49:50]
	ds_read_b128 v[31:34], v86 offset:20480
	ds_read_b128 v[35:38], v86 offset:46080
	v_mul_f64 v[49:50], v[23:24], v[49:50]
	v_fma_f64 v[144:145], v[17:18], v[39:40], -v[41:42]
	v_fma_f64 v[138:139], v[19:20], v[43:44], v[138:139]
	s_waitcnt vmcnt(5) lgkmcnt(1)
	v_mul_f64 v[142:143], v[33:34], v[53:54]
	v_mul_f64 v[53:54], v[31:32], v[53:54]
	v_fma_f64 v[44:45], v[21:22], v[43:44], -v[45:46]
	v_fma_f64 v[146:147], v[23:24], v[47:48], v[15:16]
	ds_read_b128 v[15:18], v86 offset:33280
	ds_read_b128 v[19:22], v86 offset:35840
	v_fma_f64 v[46:47], v[25:26], v[47:48], -v[49:50]
	ds_read_b128 v[102:105], v86 offset:23040
	v_fma_f64 v[48:49], v[31:32], v[51:52], v[142:143]
	v_fma_f64 v[50:51], v[33:34], v[51:52], -v[53:54]
	ds_read_b128 v[31:34], v86 offset:48640
	s_waitcnt vmcnt(4) lgkmcnt(3)
	v_mul_f64 v[39:40], v[17:18], v[82:83]
	v_mul_f64 v[41:42], v[15:16], v[82:83]
	s_waitcnt vmcnt(3)
	v_mul_f64 v[52:53], v[37:38], v[96:97]
	v_mul_f64 v[54:55], v[35:36], v[96:97]
	v_add_f64 v[96:97], v[27:28], -v[126:127]
	ds_read_b128 v[23:26], v86
	v_add_f64 v[44:45], v[13:14], -v[44:45]
	v_add_f64 v[46:47], v[144:145], -v[46:47]
	v_fma_f64 v[126:127], v[15:16], v[80:81], v[39:40]
	v_fma_f64 v[80:81], v[17:18], v[80:81], -v[41:42]
	v_fma_f64 v[52:53], v[35:36], v[94:95], v[52:53]
	s_waitcnt vmcnt(2) lgkmcnt(2)
	v_mul_f64 v[35:36], v[102:103], v[100:101]
	v_fma_f64 v[15:16], v[27:28], 2.0, -v[96:97]
	v_mul_f64 v[27:28], v[104:105], v[100:101]
	s_waitcnt vmcnt(0) lgkmcnt(1)
	v_mul_f64 v[41:42], v[33:34], v[112:113]
	v_fma_f64 v[54:55], v[37:38], v[94:95], -v[54:55]
	v_mul_f64 v[37:38], v[21:22], v[108:109]
	v_mul_f64 v[39:40], v[19:20], v[108:109]
	v_mul_f64 v[94:95], v[31:32], v[112:113]
	v_fma_f64 v[27:28], v[102:103], v[98:99], v[27:28]
	v_fma_f64 v[98:99], v[104:105], v[98:99], -v[35:36]
	v_fma_f64 v[104:105], v[31:32], v[110:111], v[41:42]
	v_lshl_add_u32 v31, v76, 4, 0
	v_fma_f64 v[100:101], v[19:20], v[106:107], v[37:38]
	v_fma_f64 v[102:103], v[21:22], v[106:107], -v[39:40]
	ds_read_b128 v[36:39], v31
	s_waitcnt lgkmcnt(1)
	v_add_f64 v[82:83], v[23:24], -v[84:85]
	v_add_f64 v[84:85], v[25:26], -v[118:119]
	;; [unrolled: 1-line block ×3, first 2 shown]
	v_fma_f64 v[94:95], v[33:34], v[110:111], -v[94:95]
	ds_read_b128 v[32:35], v93
	v_add_f64 v[106:107], v[120:121], -v[132:133]
	s_waitcnt lgkmcnt(0)
	s_barrier
	v_fma_f64 v[23:24], v[23:24], 2.0, -v[82:83]
	v_fma_f64 v[25:26], v[25:26], 2.0, -v[84:85]
	;; [unrolled: 1-line block ×4, first 2 shown]
	v_add_f64 v[15:16], v[23:24], -v[15:16]
	v_add_f64 v[17:18], v[25:26], -v[17:18]
	v_fma_f64 v[19:20], v[23:24], 2.0, -v[15:16]
	v_mov_b32_e32 v23, 0x1900
	v_fma_f64 v[21:22], v[25:26], 2.0, -v[17:18]
	v_cndmask_b32_e32 v29, 0, v23, vcc
	v_add_f64 v[23:24], v[82:83], v[118:119]
	v_add_f64 v[25:26], v[84:85], -v[96:97]
	v_add_f64 v[96:97], v[32:33], -v[122:123]
	v_add3_u32 v8, 0, v29, v8
	v_mul_u32_u24_e32 v29, 0x1900, v7
	v_add3_u32 v6, 0, v29, v6
	v_mul_u32_u24_e32 v29, 0x1900, v5
	v_add3_u32 v0, 0, v29, v0
	v_fma_f64 v[40:41], v[82:83], 2.0, -v[23:24]
	v_fma_f64 v[42:43], v[84:85], 2.0, -v[25:26]
	v_add_f64 v[82:83], v[34:35], -v[124:125]
	v_add_f64 v[84:85], v[136:137], -v[134:135]
	v_fma_f64 v[32:33], v[32:33], 2.0, -v[96:97]
	ds_write_b128 v8, v[19:22]
	ds_write_b128 v8, v[40:43] offset:1600
	ds_write_b128 v8, v[15:18] offset:3200
	;; [unrolled: 1-line block ×3, first 2 shown]
	v_fma_f64 v[34:35], v[34:35], 2.0, -v[82:83]
	v_fma_f64 v[19:20], v[136:137], 2.0, -v[84:85]
	v_add_f64 v[15:16], v[32:33], -v[108:109]
	v_add_f64 v[40:41], v[11:12], -v[138:139]
	;; [unrolled: 1-line block ×4, first 2 shown]
	v_fma_f64 v[106:107], v[13:14], 2.0, -v[44:45]
	v_fma_f64 v[108:109], v[144:145], 2.0, -v[46:47]
	v_add_f64 v[7:8], v[38:39], -v[80:81]
	v_add_f64 v[17:18], v[34:35], -v[19:20]
	v_add_f64 v[19:20], v[96:97], v[84:85]
	v_fma_f64 v[23:24], v[32:33], 2.0, -v[15:16]
	v_fma_f64 v[84:85], v[11:12], 2.0, -v[40:41]
	;; [unrolled: 1-line block ×7, first 2 shown]
	v_add_f64 v[34:35], v[106:107], -v[108:109]
	v_add_f64 v[32:33], v[84:85], -v[32:33]
	ds_write_b128 v2, v[23:26]
	v_add_f64 v[23:24], v[40:41], v[46:47]
	ds_write_b128 v2, v[11:14] offset:1600
	ds_write_b128 v2, v[15:18] offset:3200
	;; [unrolled: 1-line block ×3, first 2 shown]
	v_add_f64 v[25:26], v[44:45], -v[42:43]
	v_fma_f64 v[11:12], v[84:85], 2.0, -v[32:33]
	v_fma_f64 v[13:14], v[106:107], 2.0, -v[34:35]
	v_add_f64 v[2:3], v[36:37], -v[126:127]
	v_add_f64 v[21:22], v[48:49], -v[52:53]
	;; [unrolled: 1-line block ×3, first 2 shown]
	v_fma_f64 v[15:16], v[40:41], 2.0, -v[23:24]
	v_add_f64 v[40:41], v[114:115], -v[100:101]
	v_fma_f64 v[17:18], v[44:45], 2.0, -v[25:26]
	v_add_f64 v[42:43], v[116:117], -v[102:103]
	ds_write_b128 v6, v[11:14]
	v_fma_f64 v[36:37], v[36:37], 2.0, -v[2:3]
	v_fma_f64 v[11:12], v[48:49], 2.0, -v[21:22]
	;; [unrolled: 1-line block ×3, first 2 shown]
	v_add_f64 v[44:45], v[27:28], -v[104:105]
	v_add_f64 v[46:47], v[98:99], -v[94:95]
	ds_write_b128 v6, v[32:35] offset:3200
	v_fma_f64 v[48:49], v[114:115], 2.0, -v[40:41]
	v_fma_f64 v[50:51], v[116:117], 2.0, -v[42:43]
	ds_write_b128 v6, v[15:18] offset:1600
	v_add_f64 v[11:12], v[36:37], -v[11:12]
	v_add_f64 v[13:14], v[38:39], -v[13:14]
	v_fma_f64 v[27:28], v[27:28], 2.0, -v[44:45]
	v_fma_f64 v[32:33], v[98:99], 2.0, -v[46:47]
	v_add_f64 v[15:16], v[2:3], v[19:20]
	v_add_f64 v[17:18], v[7:8], -v[21:22]
	ds_write_b128 v6, v[23:26] offset:4800
	v_add_f64 v[34:35], v[42:43], -v[44:45]
	v_fma_f64 v[19:20], v[36:37], 2.0, -v[11:12]
	v_fma_f64 v[21:22], v[38:39], 2.0, -v[13:14]
	v_add_f64 v[23:24], v[48:49], -v[27:28]
	v_add_f64 v[25:26], v[50:51], -v[32:33]
	v_add_f64 v[32:33], v[40:41], v[46:47]
	v_fma_f64 v[5:6], v[2:3], 2.0, -v[15:16]
	v_fma_f64 v[7:8], v[7:8], 2.0, -v[17:18]
	;; [unrolled: 1-line block ×3, first 2 shown]
	v_lshlrev_b32_e32 v2, 4, v10
	ds_write_b128 v0, v[19:22]
	v_fma_f64 v[19:20], v[48:49], 2.0, -v[23:24]
	v_fma_f64 v[21:22], v[50:51], 2.0, -v[25:26]
	;; [unrolled: 1-line block ×3, first 2 shown]
	ds_write_b128 v0, v[5:8] offset:1600
	ds_write_b128 v0, v[11:14] offset:3200
	;; [unrolled: 1-line block ×3, first 2 shown]
	v_mul_u32_u24_e32 v0, 0x1900, v9
	v_add3_u32 v0, 0, v0, v2
	ds_write_b128 v0, v[19:22]
	ds_write_b128 v0, v[36:39] offset:1600
	ds_write_b128 v0, v[23:26] offset:3200
	;; [unrolled: 1-line block ×3, first 2 shown]
	v_mul_u32_u24_e32 v0, 3, v56
	v_lshlrev_b32_e32 v0, 4, v0
	v_add_co_u32_e32 v29, vcc, s12, v0
	v_addc_co_u32_e32 v84, vcc, 0, v4, vcc
	v_add_co_u32_e32 v2, vcc, s5, v29
	v_addc_co_u32_e32 v3, vcc, 0, v84, vcc
	v_mul_i32_i24_e32 v0, 3, v62
	s_waitcnt lgkmcnt(0)
	s_barrier
	global_load_dwordx4 v[5:8], v[2:3], off offset:2144
	v_lshlrev_b64 v[2:3], 4, v[0:1]
	v_add_co_u32_e32 v0, vcc, s12, v2
	v_addc_co_u32_e32 v21, vcc, v4, v3, vcc
	v_add_co_u32_e32 v2, vcc, s4, v29
	v_addc_co_u32_e32 v3, vcc, 0, v84, vcc
	global_load_dwordx4 v[9:12], v[2:3], off offset:16
	v_add_co_u32_e32 v32, vcc, s4, v0
	v_addc_co_u32_e32 v33, vcc, 0, v21, vcc
	global_load_dwordx4 v[13:16], v[32:33], off offset:16
	global_load_dwordx4 v[17:20], v[2:3], off offset:32
	v_add_co_u32_e32 v2, vcc, s5, v0
	v_addc_co_u32_e32 v3, vcc, 0, v21, vcc
	global_load_dwordx4 v[21:24], v[2:3], off offset:2144
	global_load_dwordx4 v[25:28], v[32:33], off offset:32
	v_add_u32_e32 v0, 0xffffffb0, v56
	v_cmp_gt_u32_e32 vcc, s6, v56
	v_cndmask_b32_e32 v2, v0, v78, vcc
	v_mul_i32_i24_e32 v0, 3, v2
	v_lshlrev_b64 v[0:1], 4, v[0:1]
	s_add_u32 s6, s12, 0xc760
	v_add_co_u32_e32 v3, vcc, s12, v0
	v_addc_co_u32_e32 v36, vcc, v4, v1, vcc
	v_add_co_u32_e32 v0, vcc, s5, v3
	v_addc_co_u32_e32 v1, vcc, 0, v36, vcc
	global_load_dwordx4 v[32:35], v[0:1], off offset:2144
	v_add_co_u32_e32 v0, vcc, s4, v3
	v_addc_co_u32_e32 v1, vcc, 0, v36, vcc
	global_load_dwordx4 v[36:39], v[0:1], off offset:16
	global_load_dwordx4 v[40:43], v[0:1], off offset:32
	s_movk_i32 s5, 0x2000
	v_add_co_u32_e32 v0, vcc, s5, v29
	s_movk_i32 s4, 0x2760
	v_addc_co_u32_e32 v1, vcc, 0, v84, vcc
	global_load_dwordx4 v[44:47], v[0:1], off offset:1888
	v_add_co_u32_e32 v0, vcc, s4, v29
	v_addc_co_u32_e32 v1, vcc, 0, v84, vcc
	global_load_dwordx4 v[48:51], v[0:1], off offset:16
	global_load_dwordx4 v[52:55], v[0:1], off offset:32
	s_movk_i32 s4, 0x4000
	v_add_co_u32_e32 v0, vcc, s4, v29
	v_addc_co_u32_e32 v1, vcc, 0, v84, vcc
	global_load_dwordx4 v[80:83], v[0:1], off offset:1376
	s_movk_i32 s4, 0x4560
	v_add_co_u32_e32 v0, vcc, s4, v29
	v_addc_co_u32_e32 v1, vcc, 0, v84, vcc
	ds_read_b128 v[94:97], v30
	global_load_dwordx4 v[98:101], v[0:1], off offset:16
	global_load_dwordx4 v[102:105], v[0:1], off offset:32
	ds_read_b128 v[110:113], v86 offset:25600
	ds_read_b128 v[118:121], v86 offset:38400
	ds_read_b128 v[106:109], v91
	ds_read_b128 v[114:117], v86 offset:28160
	s_movk_i32 s4, 0x4f
	v_cmp_lt_u32_e32 vcc, s4, v56
	s_movk_i32 s4, 0x6000
	s_addc_u32 s7, s13, 0
	s_waitcnt vmcnt(14) lgkmcnt(4)
	v_mul_f64 v[0:1], v[96:97], v[7:8]
	v_mul_f64 v[7:8], v[94:95], v[7:8]
	v_fma_f64 v[0:1], v[94:95], v[5:6], v[0:1]
	v_fma_f64 v[126:127], v[96:97], v[5:6], -v[7:8]
	ds_read_b128 v[5:8], v86 offset:15360
	ds_read_b128 v[94:97], v86 offset:40960
	s_waitcnt vmcnt(13) lgkmcnt(5)
	v_mul_f64 v[84:85], v[112:113], v[11:12]
	v_mul_f64 v[11:12], v[110:111], v[11:12]
	ds_read_b128 v[122:125], v86 offset:17920
	s_waitcnt vmcnt(11) lgkmcnt(5)
	v_mul_f64 v[128:129], v[120:121], v[19:20]
	v_mul_f64 v[19:20], v[118:119], v[19:20]
	v_fma_f64 v[84:85], v[110:111], v[9:10], v[84:85]
	s_waitcnt vmcnt(10) lgkmcnt(2)
	v_mul_f64 v[130:131], v[7:8], v[23:24]
	v_fma_f64 v[110:111], v[112:113], v[9:10], -v[11:12]
	v_mul_f64 v[9:10], v[5:6], v[23:24]
	v_mul_f64 v[11:12], v[116:117], v[15:16]
	v_fma_f64 v[112:113], v[118:119], v[17:18], v[128:129]
	v_fma_f64 v[118:119], v[120:121], v[17:18], -v[19:20]
	s_waitcnt vmcnt(9) lgkmcnt(1)
	v_mul_f64 v[17:18], v[96:97], v[27:28]
	v_mul_f64 v[19:20], v[94:95], v[27:28]
	;; [unrolled: 1-line block ×3, first 2 shown]
	v_fma_f64 v[120:121], v[5:6], v[21:22], v[130:131]
	v_fma_f64 v[128:129], v[7:8], v[21:22], -v[9:10]
	ds_read_b128 v[5:8], v86 offset:30720
	v_fma_f64 v[114:115], v[114:115], v[13:14], v[11:12]
	ds_read_b128 v[9:12], v92
	v_fma_f64 v[94:95], v[94:95], v[25:26], v[17:18]
	v_fma_f64 v[96:97], v[96:97], v[25:26], -v[19:20]
	s_waitcnt vmcnt(8) lgkmcnt(2)
	v_mul_f64 v[21:22], v[124:125], v[34:35]
	v_mul_f64 v[23:24], v[122:123], v[34:35]
	v_fma_f64 v[116:117], v[116:117], v[13:14], -v[15:16]
	ds_read_b128 v[13:16], v86 offset:43520
	ds_read_b128 v[17:20], v86 offset:46080
	s_waitcnt vmcnt(7) lgkmcnt(3)
	v_mul_f64 v[25:26], v[7:8], v[38:39]
	v_mul_f64 v[38:39], v[5:6], v[38:39]
	v_fma_f64 v[122:123], v[122:123], v[32:33], v[21:22]
	v_fma_f64 v[124:125], v[124:125], v[32:33], -v[23:24]
	s_waitcnt vmcnt(6) lgkmcnt(1)
	v_mul_f64 v[130:131], v[15:16], v[42:43]
	ds_read_b128 v[21:24], v86 offset:20480
	v_mul_f64 v[42:43], v[13:14], v[42:43]
	v_fma_f64 v[132:133], v[5:6], v[36:37], v[25:26]
	ds_read_b128 v[25:28], v86 offset:23040
	ds_read_b128 v[32:35], v86 offset:33280
	v_fma_f64 v[36:37], v[7:8], v[36:37], -v[38:39]
	s_waitcnt vmcnt(5) lgkmcnt(2)
	v_mul_f64 v[134:135], v[23:24], v[46:47]
	v_mul_f64 v[46:47], v[21:22], v[46:47]
	v_fma_f64 v[130:131], v[13:14], v[40:41], v[130:131]
	s_waitcnt vmcnt(4) lgkmcnt(0)
	v_mul_f64 v[38:39], v[34:35], v[50:51]
	v_mul_f64 v[50:51], v[32:33], v[50:51]
	v_fma_f64 v[40:41], v[15:16], v[40:41], -v[42:43]
	ds_read_b128 v[13:16], v86
	s_waitcnt vmcnt(3)
	v_mul_f64 v[42:43], v[19:20], v[54:55]
	v_fma_f64 v[134:135], v[21:22], v[44:45], v[134:135]
	v_fma_f64 v[44:45], v[23:24], v[44:45], -v[46:47]
	v_mul_f64 v[54:55], v[17:18], v[54:55]
	v_fma_f64 v[46:47], v[32:33], v[48:49], v[38:39]
	v_fma_f64 v[48:49], v[34:35], v[48:49], -v[50:51]
	s_waitcnt lgkmcnt(0)
	v_add_f64 v[32:33], v[13:14], -v[84:85]
	v_add_f64 v[34:35], v[0:1], -v[112:113]
	;; [unrolled: 1-line block ×4, first 2 shown]
	ds_read_b128 v[5:8], v86 offset:35840
	ds_read_b128 v[21:24], v86 offset:48640
	s_waitcnt vmcnt(2)
	v_mul_f64 v[84:85], v[27:28], v[82:83]
	v_fma_f64 v[110:111], v[17:18], v[52:53], v[42:43]
	v_mul_f64 v[17:18], v[25:26], v[82:83]
	v_fma_f64 v[42:43], v[13:14], 2.0, -v[32:33]
	v_fma_f64 v[0:1], v[0:1], 2.0, -v[34:35]
	;; [unrolled: 1-line block ×4, first 2 shown]
	v_fma_f64 v[52:53], v[19:20], v[52:53], -v[54:55]
	s_waitcnt vmcnt(1) lgkmcnt(1)
	v_mul_f64 v[19:20], v[7:8], v[100:101]
	v_mul_f64 v[54:55], v[5:6], v[100:101]
	s_waitcnt vmcnt(0) lgkmcnt(0)
	v_mul_f64 v[100:101], v[23:24], v[104:105]
	v_mul_f64 v[104:105], v[21:22], v[104:105]
	v_add_f64 v[13:14], v[42:43], -v[0:1]
	v_fma_f64 v[84:85], v[25:26], v[80:81], v[84:85]
	v_add_f64 v[15:16], v[82:83], -v[15:16]
	v_fma_f64 v[80:81], v[27:28], v[80:81], -v[17:18]
	v_fma_f64 v[112:113], v[5:6], v[98:99], v[19:20]
	v_fma_f64 v[54:55], v[7:8], v[98:99], -v[54:55]
	ds_read_b128 v[5:8], v93
	v_fma_f64 v[98:99], v[21:22], v[102:103], v[100:101]
	v_fma_f64 v[100:101], v[23:24], v[102:103], -v[104:105]
	ds_read_b128 v[21:24], v31
	v_fma_f64 v[17:18], v[42:43], 2.0, -v[13:14]
	v_fma_f64 v[19:20], v[82:83], 2.0, -v[15:16]
	s_waitcnt lgkmcnt(1)
	v_add_f64 v[0:1], v[5:6], -v[114:115]
	v_add_f64 v[42:43], v[7:8], -v[116:117]
	;; [unrolled: 1-line block ×4, first 2 shown]
	v_add_f64 v[25:26], v[32:33], v[50:51]
	v_add_f64 v[27:28], v[38:39], -v[34:35]
	v_add_f64 v[104:105], v[9:10], -v[132:133]
	v_add_f64 v[114:115], v[11:12], -v[36:37]
	v_fma_f64 v[50:51], v[5:6], 2.0, -v[0:1]
	v_fma_f64 v[96:97], v[7:8], 2.0, -v[42:43]
	;; [unrolled: 1-line block ×4, first 2 shown]
	v_add_f64 v[116:117], v[122:123], -v[130:131]
	v_add_f64 v[118:119], v[124:125], -v[40:41]
	v_fma_f64 v[5:6], v[32:33], 2.0, -v[25:26]
	v_fma_f64 v[7:8], v[38:39], 2.0, -v[27:28]
	v_add_f64 v[36:37], v[0:1], v[94:95]
	v_add_f64 v[38:39], v[42:43], -v[82:83]
	v_add_f64 v[32:33], v[50:51], -v[34:35]
	;; [unrolled: 1-line block ×3, first 2 shown]
	v_fma_f64 v[82:83], v[9:10], 2.0, -v[104:105]
	v_fma_f64 v[94:95], v[11:12], 2.0, -v[114:115]
	;; [unrolled: 1-line block ×8, first 2 shown]
	s_waitcnt lgkmcnt(0)
	s_barrier
	ds_write_b128 v86, v[17:20]
	ds_write_b128 v86, v[5:8] offset:6400
	v_add_f64 v[5:6], v[82:83], -v[102:103]
	v_add_f64 v[7:8], v[94:95], -v[120:121]
	ds_write_b128 v86, v[13:16] offset:12800
	ds_write_b128 v86, v[25:28] offset:19200
	ds_write_b128 v93, v[9:12]
	ds_write_b128 v93, v[40:43] offset:6400
	ds_write_b128 v93, v[32:35] offset:12800
	ds_write_b128 v93, v[36:39] offset:19200
	v_add_f64 v[32:33], v[21:22], -v[46:47]
	v_add_f64 v[34:35], v[23:24], -v[48:49]
	;; [unrolled: 1-line block ×4, first 2 shown]
	v_add_f64 v[13:14], v[104:105], v[118:119]
	v_add_f64 v[15:16], v[114:115], -v[116:117]
	v_add_f64 v[40:41], v[106:107], -v[112:113]
	;; [unrolled: 1-line block ×5, first 2 shown]
	v_mov_b32_e32 v0, 0x6400
	v_fma_f64 v[9:10], v[82:83], 2.0, -v[5:6]
	v_fma_f64 v[11:12], v[94:95], 2.0, -v[7:8]
	v_cndmask_b32_e32 v0, 0, v0, vcc
	v_lshlrev_b32_e32 v1, 4, v2
	v_fma_f64 v[36:37], v[21:22], 2.0, -v[32:33]
	v_fma_f64 v[38:39], v[23:24], 2.0, -v[34:35]
	;; [unrolled: 1-line block ×4, first 2 shown]
	v_add3_u32 v29, 0, v0, v1
	v_fma_f64 v[0:1], v[104:105], 2.0, -v[13:14]
	v_fma_f64 v[2:3], v[114:115], 2.0, -v[15:16]
	;; [unrolled: 1-line block ×6, first 2 shown]
	ds_write_b128 v29, v[9:12]
	ds_write_b128 v29, v[0:3] offset:6400
	v_add_f64 v[0:1], v[36:37], -v[21:22]
	v_add_f64 v[2:3], v[38:39], -v[23:24]
	v_add_f64 v[9:10], v[32:33], v[19:20]
	v_add_f64 v[11:12], v[34:35], -v[17:18]
	v_add_f64 v[17:18], v[44:45], -v[48:49]
	;; [unrolled: 1-line block ×3, first 2 shown]
	v_add_f64 v[21:22], v[40:41], v[27:28]
	v_add_f64 v[23:24], v[42:43], -v[25:26]
	v_fma_f64 v[25:26], v[36:37], 2.0, -v[0:1]
	v_fma_f64 v[27:28], v[38:39], 2.0, -v[2:3]
	;; [unrolled: 1-line block ×8, first 2 shown]
	ds_write_b128 v29, v[5:8] offset:12800
	ds_write_b128 v29, v[13:16] offset:19200
	;; [unrolled: 1-line block ×10, first 2 shown]
	v_lshlrev_b64 v[2:3], 4, v[56:57]
	v_lshlrev_b64 v[24:25], 4, v[62:63]
	v_add_co_u32_e32 v0, vcc, s12, v2
	v_addc_co_u32_e32 v1, vcc, v4, v3, vcc
	v_add_co_u32_e32 v0, vcc, s4, v0
	v_addc_co_u32_e32 v1, vcc, 0, v1, vcc
	;; [unrolled: 2-line block ×3, first 2 shown]
	v_add_co_u32_e32 v5, vcc, s4, v5
	v_lshlrev_b64 v[22:23], 4, v[78:79]
	v_addc_co_u32_e32 v6, vcc, 0, v6, vcc
	s_waitcnt lgkmcnt(0)
	s_barrier
	global_load_dwordx4 v[26:29], v[0:1], off offset:864
	global_load_dwordx4 v[32:35], v[5:6], off offset:864
	v_add_co_u32_e32 v0, vcc, s12, v22
	v_addc_co_u32_e32 v1, vcc, v4, v23, vcc
	v_add_co_u32_e32 v0, vcc, s4, v0
	v_lshlrev_b64 v[20:21], 4, v[76:77]
	v_addc_co_u32_e32 v1, vcc, 0, v1, vcc
	v_add_co_u32_e32 v5, vcc, s12, v20
	v_addc_co_u32_e32 v6, vcc, v4, v21, vcc
	v_add_co_u32_e32 v5, vcc, s4, v5
	v_lshlrev_b64 v[18:19], 4, v[74:75]
	v_addc_co_u32_e32 v6, vcc, 0, v6, vcc
	global_load_dwordx4 v[36:39], v[0:1], off offset:864
	global_load_dwordx4 v[40:43], v[5:6], off offset:864
	v_add_co_u32_e32 v0, vcc, s12, v18
	v_addc_co_u32_e32 v1, vcc, v4, v19, vcc
	v_add_co_u32_e32 v0, vcc, s4, v0
	v_lshlrev_b64 v[16:17], 4, v[72:73]
	v_addc_co_u32_e32 v1, vcc, 0, v1, vcc
	v_add_co_u32_e32 v5, vcc, s12, v16
	v_addc_co_u32_e32 v6, vcc, v4, v17, vcc
	v_add_co_u32_e32 v5, vcc, s4, v5
	v_lshlrev_b64 v[14:15], 4, v[70:71]
	v_addc_co_u32_e32 v6, vcc, 0, v6, vcc
	global_load_dwordx4 v[44:47], v[0:1], off offset:864
	global_load_dwordx4 v[48:51], v[5:6], off offset:864
	v_add_co_u32_e32 v0, vcc, s12, v14
	v_addc_co_u32_e32 v1, vcc, v4, v15, vcc
	v_add_co_u32_e32 v0, vcc, s4, v0
	v_lshlrev_b64 v[12:13], 4, v[64:65]
	v_addc_co_u32_e32 v1, vcc, 0, v1, vcc
	v_add_co_u32_e32 v5, vcc, s12, v12
	v_addc_co_u32_e32 v6, vcc, v4, v13, vcc
	v_add_co_u32_e32 v5, vcc, s4, v5
	v_addc_co_u32_e32 v6, vcc, 0, v6, vcc
	global_load_dwordx4 v[52:55], v[0:1], off offset:864
	global_load_dwordx4 v[70:73], v[5:6], off offset:864
	v_lshlrev_b64 v[10:11], 4, v[66:67]
	v_lshlrev_b64 v[8:9], 4, v[68:69]
	v_add_co_u32_e32 v0, vcc, s12, v10
	v_addc_co_u32_e32 v1, vcc, v4, v11, vcc
	v_add_co_u32_e32 v0, vcc, s4, v0
	v_addc_co_u32_e32 v1, vcc, 0, v1, vcc
	;; [unrolled: 2-line block ×3, first 2 shown]
	global_load_dwordx4 v[4:7], v[0:1], off offset:864
	v_add_co_u32_e32 v0, vcc, s4, v57
	v_addc_co_u32_e32 v1, vcc, 0, v63, vcc
	global_load_dwordx4 v[74:77], v[0:1], off offset:864
	ds_read_b128 v[78:81], v86 offset:25600
	ds_read_b128 v[82:85], v86 offset:28160
	;; [unrolled: 1-line block ×4, first 2 shown]
	ds_read_b128 v[98:101], v92
	s_waitcnt vmcnt(9) lgkmcnt(4)
	v_mul_f64 v[0:1], v[80:81], v[28:29]
	v_mul_f64 v[28:29], v[78:79], v[28:29]
	s_waitcnt vmcnt(8) lgkmcnt(3)
	v_mul_f64 v[65:66], v[84:85], v[34:35]
	v_mul_f64 v[34:35], v[82:83], v[34:35]
	v_cmp_ne_u32_e32 vcc, 0, v56
	v_fma_f64 v[0:1], v[78:79], v[26:27], v[0:1]
	v_fma_f64 v[108:109], v[80:81], v[26:27], -v[28:29]
	ds_read_b128 v[26:29], v86 offset:35840
	v_fma_f64 v[65:66], v[82:83], v[32:33], v[65:66]
	v_fma_f64 v[82:83], v[84:85], v[32:33], -v[34:35]
	ds_read_b128 v[32:35], v86 offset:38400
	s_waitcnt vmcnt(7) lgkmcnt(4)
	v_mul_f64 v[106:107], v[96:97], v[38:39]
	v_mul_f64 v[38:39], v[94:95], v[38:39]
	v_fma_f64 v[84:85], v[94:95], v[36:37], v[106:107]
	v_fma_f64 v[94:95], v[96:97], v[36:37], -v[38:39]
	ds_read_b128 v[36:39], v86 offset:40960
	s_waitcnt vmcnt(5) lgkmcnt(2)
	v_mul_f64 v[96:97], v[28:29], v[46:47]
	v_mul_f64 v[46:47], v[26:27], v[46:47]
	s_waitcnt vmcnt(4) lgkmcnt(1)
	v_mul_f64 v[106:107], v[34:35], v[50:51]
	v_mul_f64 v[50:51], v[32:33], v[50:51]
	v_fma_f64 v[96:97], v[26:27], v[44:45], v[96:97]
	v_fma_f64 v[114:115], v[28:29], v[44:45], -v[46:47]
	ds_read_b128 v[26:29], v86 offset:48640
	v_fma_f64 v[106:107], v[32:33], v[48:49], v[106:107]
	v_lshl_add_u32 v32, v68, 4, 0
	v_fma_f64 v[116:117], v[34:35], v[48:49], -v[50:51]
	s_waitcnt vmcnt(3) lgkmcnt(1)
	v_mul_f64 v[110:111], v[38:39], v[54:55]
	v_mul_f64 v[54:55], v[36:37], v[54:55]
	v_fma_f64 v[110:111], v[36:37], v[52:53], v[110:111]
	v_fma_f64 v[118:119], v[38:39], v[52:53], -v[54:55]
	ds_read_b128 v[52:55], v32
	v_mul_f64 v[78:79], v[104:105], v[42:43]
	v_mul_f64 v[42:43], v[102:103], v[42:43]
	ds_read_b128 v[33:36], v86
	s_waitcnt lgkmcnt(0)
	v_add_f64 v[48:49], v[33:34], -v[0:1]
	v_fma_f64 v[102:103], v[102:103], v[40:41], v[78:79]
	ds_read_b128 v[78:81], v86 offset:43520
	v_fma_f64 v[104:105], v[104:105], v[40:41], -v[42:43]
	ds_read_b128 v[40:43], v86 offset:46080
	v_add_f64 v[50:51], v[35:36], -v[108:109]
	s_waitcnt vmcnt(2) lgkmcnt(1)
	v_mul_f64 v[44:45], v[78:79], v[72:73]
	v_mul_f64 v[112:113], v[80:81], v[72:73]
	s_waitcnt vmcnt(1) lgkmcnt(0)
	v_mul_f64 v[37:38], v[42:43], v[6:7]
	v_mul_f64 v[6:7], v[40:41], v[6:7]
	v_fma_f64 v[120:121], v[80:81], v[70:71], -v[44:45]
	ds_read_b128 v[44:47], v93
	v_fma_f64 v[112:113], v[78:79], v[70:71], v[112:113]
	s_waitcnt vmcnt(0)
	v_mul_f64 v[69:70], v[28:29], v[76:77]
	v_mul_f64 v[71:72], v[26:27], v[76:77]
	v_fma_f64 v[0:1], v[40:41], v[4:5], v[37:38]
	s_waitcnt lgkmcnt(0)
	v_add_f64 v[65:66], v[44:45], -v[65:66]
	v_add_f64 v[67:68], v[46:47], -v[82:83]
	v_fma_f64 v[108:109], v[42:43], v[4:5], -v[6:7]
	v_fma_f64 v[4:5], v[33:34], 2.0, -v[48:49]
	v_fma_f64 v[6:7], v[35:36], 2.0, -v[50:51]
	v_fma_f64 v[122:123], v[26:27], v[74:75], v[69:70]
	v_fma_f64 v[124:125], v[28:29], v[74:75], -v[71:72]
	v_lshl_add_u32 v33, v64, 4, 0
	v_fma_f64 v[26:27], v[44:45], 2.0, -v[65:66]
	v_fma_f64 v[28:29], v[46:47], 2.0, -v[67:68]
	ds_read_b128 v[34:37], v91
	ds_read_b128 v[38:41], v90
	;; [unrolled: 1-line block ×6, first 2 shown]
	s_waitcnt lgkmcnt(0)
	s_barrier
	ds_write_b128 v86, v[4:7]
	ds_write_b128 v86, v[48:51] offset:25600
	ds_write_b128 v93, v[26:29]
	ds_write_b128 v93, v[65:68] offset:25600
	v_add_f64 v[4:5], v[98:99], -v[84:85]
	v_add_f64 v[6:7], v[100:101], -v[94:95]
	;; [unrolled: 1-line block ×8, first 2 shown]
	v_fma_f64 v[81:82], v[98:99], 2.0, -v[4:5]
	v_fma_f64 v[83:84], v[100:101], 2.0, -v[6:7]
	v_add_f64 v[93:94], v[38:39], -v[110:111]
	v_add_f64 v[95:96], v[40:41], -v[118:119]
	;; [unrolled: 1-line block ×8, first 2 shown]
	v_fma_f64 v[42:43], v[42:43], 2.0, -v[26:27]
	v_fma_f64 v[44:45], v[44:45], 2.0, -v[28:29]
	;; [unrolled: 1-line block ×14, first 2 shown]
	ds_write_b128 v92, v[81:84]
	ds_write_b128 v92, v[4:7] offset:25600
	ds_write_b128 v31, v[42:45]
	ds_write_b128 v31, v[26:29] offset:25600
	;; [unrolled: 2-line block ×8, first 2 shown]
	s_waitcnt lgkmcnt(0)
	s_barrier
	ds_read_b128 v[4:7], v86
	v_sub_u32_e32 v34, 0, v87
                                        ; implicit-def: $vgpr26_vgpr27
                                        ; implicit-def: $vgpr28_vgpr29
                                        ; implicit-def: $vgpr0_vgpr1
	s_and_saveexec_b64 s[4:5], vcc
	s_xor_b64 s[4:5], exec, s[4:5]
	s_cbranch_execz .LBB0_15
; %bb.14:
	v_mov_b32_e32 v1, s7
	v_add_co_u32_e32 v0, vcc, s6, v2
	v_addc_co_u32_e32 v1, vcc, v1, v3, vcc
	global_load_dwordx4 v[35:38], v[0:1], off
	ds_read_b128 v[0:3], v34 offset:51200
	s_waitcnt lgkmcnt(0)
	v_add_f64 v[26:27], v[4:5], -v[0:1]
	v_add_f64 v[28:29], v[6:7], v[2:3]
	v_add_f64 v[2:3], v[6:7], -v[2:3]
	v_add_f64 v[0:1], v[4:5], v[0:1]
	v_mul_f64 v[6:7], v[26:27], 0.5
	v_mul_f64 v[4:5], v[28:29], 0.5
	;; [unrolled: 1-line block ×3, first 2 shown]
	s_waitcnt vmcnt(0)
	v_mul_f64 v[26:27], v[6:7], v[37:38]
	v_fma_f64 v[28:29], v[4:5], v[37:38], v[2:3]
	v_fma_f64 v[2:3], v[4:5], v[37:38], -v[2:3]
	v_fma_f64 v[39:40], v[0:1], 0.5, v[26:27]
	v_fma_f64 v[0:1], v[0:1], 0.5, -v[26:27]
	v_fma_f64 v[28:29], -v[35:36], v[6:7], v[28:29]
	v_fma_f64 v[2:3], -v[35:36], v[6:7], v[2:3]
	v_fma_f64 v[26:27], v[4:5], v[35:36], v[39:40]
	v_fma_f64 v[0:1], -v[4:5], v[35:36], v[0:1]
                                        ; implicit-def: $vgpr4_vgpr5
.LBB0_15:
	s_or_saveexec_b64 s[4:5], s[4:5]
	v_mul_i32_i24_e32 v35, 0xffffff70, v62
	s_xor_b64 exec, exec, s[4:5]
	s_cbranch_execz .LBB0_17
; %bb.16:
	s_waitcnt lgkmcnt(0)
	v_add_f64 v[26:27], v[4:5], v[6:7]
	v_add_f64 v[0:1], v[4:5], -v[6:7]
	v_mov_b32_e32 v4, 0
	ds_read_b64 v[2:3], v4 offset:25608
	v_mov_b32_e32 v28, 0
	v_mov_b32_e32 v29, 0
	s_waitcnt lgkmcnt(0)
	v_xor_b32_e32 v3, 0x80000000, v3
	ds_write_b64 v4, v[2:3] offset:25608
	v_mov_b32_e32 v2, v28
	v_mov_b32_e32 v3, v29
.LBB0_17:
	s_or_b64 exec, exec, s[4:5]
	s_waitcnt lgkmcnt(0)
	v_mov_b32_e32 v5, s7
	v_add_co_u32_e32 v4, vcc, s6, v24
	v_addc_co_u32_e32 v5, vcc, v5, v25, vcc
	global_load_dwordx4 v[4:7], v[4:5], off
	v_mov_b32_e32 v24, s7
	v_add_co_u32_e32 v22, vcc, s6, v22
	v_addc_co_u32_e32 v23, vcc, v24, v23, vcc
	global_load_dwordx4 v[22:25], v[22:23], off
	ds_write2_b64 v86, v[26:27], v[28:29] offset1:1
	ds_write_b128 v34, v[0:3] offset:51200
	v_add_u32_e32 v41, v88, v35
	ds_read_b128 v[0:3], v41
	ds_read_b128 v[26:29], v34 offset:48640
	v_mov_b32_e32 v42, s7
	s_waitcnt lgkmcnt(0)
	v_add_f64 v[35:36], v[0:1], -v[26:27]
	v_add_f64 v[37:38], v[2:3], v[28:29]
	v_add_f64 v[2:3], v[2:3], -v[28:29]
	v_add_f64 v[0:1], v[0:1], v[26:27]
	v_mul_f64 v[28:29], v[35:36], 0.5
	v_mul_f64 v[35:36], v[37:38], 0.5
	;; [unrolled: 1-line block ×3, first 2 shown]
	s_waitcnt vmcnt(1)
	v_mul_f64 v[26:27], v[28:29], v[6:7]
	v_fma_f64 v[37:38], v[35:36], v[6:7], v[2:3]
	v_fma_f64 v[6:7], v[35:36], v[6:7], -v[2:3]
	v_fma_f64 v[39:40], v[0:1], 0.5, v[26:27]
	v_fma_f64 v[26:27], v[0:1], 0.5, -v[26:27]
	v_add_co_u32_e32 v0, vcc, s6, v20
	v_addc_co_u32_e32 v1, vcc, v42, v21, vcc
	global_load_dwordx4 v[0:3], v[0:1], off
	v_fma_f64 v[20:21], -v[4:5], v[28:29], v[37:38]
	v_fma_f64 v[6:7], -v[4:5], v[28:29], v[6:7]
	v_fma_f64 v[28:29], v[35:36], v[4:5], v[39:40]
	v_fma_f64 v[4:5], -v[35:36], v[4:5], v[26:27]
	ds_write_b64 v41, v[20:21] offset:8
	ds_write_b64 v34, v[6:7] offset:48648
	ds_write_b64 v41, v[28:29]
	ds_write_b64 v34, v[4:5] offset:48640
	ds_read_b128 v[4:7], v92
	ds_read_b128 v[26:29], v34 offset:46080
	v_mov_b32_e32 v39, s7
	s_waitcnt lgkmcnt(0)
	v_add_f64 v[20:21], v[4:5], -v[26:27]
	v_add_f64 v[35:36], v[6:7], v[28:29]
	v_add_f64 v[6:7], v[6:7], -v[28:29]
	v_add_f64 v[4:5], v[4:5], v[26:27]
	v_mul_f64 v[20:21], v[20:21], 0.5
	v_mul_f64 v[28:29], v[35:36], 0.5
	;; [unrolled: 1-line block ×3, first 2 shown]
	s_waitcnt vmcnt(1)
	v_mul_f64 v[26:27], v[20:21], v[24:25]
	v_fma_f64 v[35:36], v[28:29], v[24:25], v[6:7]
	v_fma_f64 v[24:25], v[28:29], v[24:25], -v[6:7]
	v_fma_f64 v[37:38], v[4:5], 0.5, v[26:27]
	v_fma_f64 v[26:27], v[4:5], 0.5, -v[26:27]
	v_add_co_u32_e32 v4, vcc, s6, v18
	v_addc_co_u32_e32 v5, vcc, v39, v19, vcc
	global_load_dwordx4 v[4:7], v[4:5], off
	v_fma_f64 v[35:36], -v[22:23], v[20:21], v[35:36]
	v_fma_f64 v[20:21], -v[22:23], v[20:21], v[24:25]
	v_fma_f64 v[24:25], v[28:29], v[22:23], v[37:38]
	v_fma_f64 v[18:19], -v[28:29], v[22:23], v[26:27]
	v_add_co_u32_e32 v16, vcc, s6, v16
	ds_write2_b64 v92, v[24:25], v[35:36] offset1:1
	ds_write_b128 v34, v[18:21] offset:46080
	ds_read_b128 v[18:21], v31
	ds_read_b128 v[22:25], v34 offset:43520
	v_mov_b32_e32 v35, s7
	v_addc_co_u32_e32 v17, vcc, v35, v17, vcc
	s_waitcnt lgkmcnt(0)
	v_add_f64 v[26:27], v[18:19], -v[22:23]
	v_add_f64 v[28:29], v[20:21], v[24:25]
	v_add_f64 v[20:21], v[20:21], -v[24:25]
	v_add_f64 v[18:19], v[18:19], v[22:23]
	v_mul_f64 v[24:25], v[26:27], 0.5
	v_mul_f64 v[26:27], v[28:29], 0.5
	;; [unrolled: 1-line block ×3, first 2 shown]
	s_waitcnt vmcnt(1)
	v_mul_f64 v[22:23], v[24:25], v[2:3]
	v_fma_f64 v[28:29], v[26:27], v[2:3], v[20:21]
	v_fma_f64 v[2:3], v[26:27], v[2:3], -v[20:21]
	v_fma_f64 v[20:21], v[18:19], 0.5, v[22:23]
	v_fma_f64 v[22:23], v[18:19], 0.5, -v[22:23]
	global_load_dwordx4 v[16:19], v[16:17], off
	v_fma_f64 v[28:29], -v[0:1], v[24:25], v[28:29]
	v_fma_f64 v[2:3], -v[0:1], v[24:25], v[2:3]
	v_fma_f64 v[20:21], v[26:27], v[0:1], v[20:21]
	v_fma_f64 v[0:1], -v[26:27], v[0:1], v[22:23]
	ds_write2_b64 v31, v[20:21], v[28:29] offset1:1
	ds_write_b128 v34, v[0:3] offset:43520
	ds_read_b128 v[0:3], v91
	ds_read_b128 v[20:23], v34 offset:40960
	v_mov_b32_e32 v31, s7
	s_waitcnt lgkmcnt(0)
	v_add_f64 v[24:25], v[0:1], -v[20:21]
	v_add_f64 v[26:27], v[2:3], v[22:23]
	v_add_f64 v[2:3], v[2:3], -v[22:23]
	v_add_f64 v[0:1], v[0:1], v[20:21]
	v_mul_f64 v[22:23], v[24:25], 0.5
	v_mul_f64 v[24:25], v[26:27], 0.5
	;; [unrolled: 1-line block ×3, first 2 shown]
	s_waitcnt vmcnt(1)
	v_mul_f64 v[20:21], v[22:23], v[6:7]
	v_fma_f64 v[26:27], v[24:25], v[6:7], v[2:3]
	v_fma_f64 v[6:7], v[24:25], v[6:7], -v[2:3]
	v_fma_f64 v[28:29], v[0:1], 0.5, v[20:21]
	v_fma_f64 v[20:21], v[0:1], 0.5, -v[20:21]
	v_add_co_u32_e32 v0, vcc, s6, v14
	v_addc_co_u32_e32 v1, vcc, v31, v15, vcc
	global_load_dwordx4 v[0:3], v[0:1], off
	v_fma_f64 v[14:15], -v[4:5], v[22:23], v[26:27]
	v_fma_f64 v[6:7], -v[4:5], v[22:23], v[6:7]
	v_fma_f64 v[22:23], v[24:25], v[4:5], v[28:29]
	v_fma_f64 v[4:5], -v[24:25], v[4:5], v[20:21]
	ds_write2_b64 v91, v[22:23], v[14:15] offset1:1
	ds_write_b128 v34, v[4:7] offset:40960
	ds_read_b128 v[4:7], v30
	ds_read_b128 v[20:23], v34 offset:38400
	v_mov_b32_e32 v28, s7
	s_waitcnt lgkmcnt(0)
	v_add_f64 v[14:15], v[4:5], -v[20:21]
	v_add_f64 v[24:25], v[6:7], v[22:23]
	v_add_f64 v[6:7], v[6:7], -v[22:23]
	v_add_f64 v[4:5], v[4:5], v[20:21]
	v_mul_f64 v[14:15], v[14:15], 0.5
	v_mul_f64 v[22:23], v[24:25], 0.5
	;; [unrolled: 1-line block ×3, first 2 shown]
	s_waitcnt vmcnt(1)
	v_mul_f64 v[20:21], v[14:15], v[18:19]
	v_fma_f64 v[24:25], v[22:23], v[18:19], v[6:7]
	v_fma_f64 v[18:19], v[22:23], v[18:19], -v[6:7]
	v_fma_f64 v[26:27], v[4:5], 0.5, v[20:21]
	v_fma_f64 v[20:21], v[4:5], 0.5, -v[20:21]
	v_add_co_u32_e32 v4, vcc, s6, v12
	v_addc_co_u32_e32 v5, vcc, v28, v13, vcc
	global_load_dwordx4 v[4:7], v[4:5], off
	v_fma_f64 v[24:25], -v[16:17], v[14:15], v[24:25]
	v_fma_f64 v[14:15], -v[16:17], v[14:15], v[18:19]
	v_fma_f64 v[18:19], v[22:23], v[16:17], v[26:27]
	v_fma_f64 v[12:13], -v[22:23], v[16:17], v[20:21]
	ds_write2_b64 v30, v[18:19], v[24:25] offset1:1
	ds_write_b128 v34, v[12:15] offset:38400
	ds_read_b128 v[12:15], v90
	ds_read_b128 v[16:19], v34 offset:35840
	v_mov_b32_e32 v24, s7
	v_add_co_u32_e32 v10, vcc, s6, v10
	v_addc_co_u32_e32 v11, vcc, v24, v11, vcc
	s_waitcnt lgkmcnt(0)
	v_add_f64 v[20:21], v[12:13], -v[16:17]
	v_add_f64 v[22:23], v[14:15], v[18:19]
	v_add_f64 v[14:15], v[14:15], -v[18:19]
	v_add_f64 v[12:13], v[12:13], v[16:17]
	v_mul_f64 v[18:19], v[20:21], 0.5
	v_mul_f64 v[20:21], v[22:23], 0.5
	;; [unrolled: 1-line block ×3, first 2 shown]
	s_waitcnt vmcnt(1)
	v_mul_f64 v[16:17], v[18:19], v[2:3]
	v_fma_f64 v[22:23], v[20:21], v[2:3], v[14:15]
	v_fma_f64 v[2:3], v[20:21], v[2:3], -v[14:15]
	v_fma_f64 v[14:15], v[12:13], 0.5, v[16:17]
	v_fma_f64 v[16:17], v[12:13], 0.5, -v[16:17]
	global_load_dwordx4 v[10:13], v[10:11], off
	v_fma_f64 v[22:23], -v[0:1], v[18:19], v[22:23]
	v_fma_f64 v[2:3], -v[0:1], v[18:19], v[2:3]
	v_fma_f64 v[14:15], v[20:21], v[0:1], v[14:15]
	v_fma_f64 v[0:1], -v[20:21], v[0:1], v[16:17]
	ds_write2_b64 v90, v[14:15], v[22:23] offset1:1
	ds_write_b128 v34, v[0:3] offset:35840
	ds_read_b128 v[0:3], v33
	ds_read_b128 v[14:17], v34 offset:33280
	s_waitcnt lgkmcnt(0)
	v_add_f64 v[18:19], v[0:1], -v[14:15]
	v_add_f64 v[20:21], v[2:3], v[16:17]
	v_add_f64 v[2:3], v[2:3], -v[16:17]
	v_add_f64 v[0:1], v[0:1], v[14:15]
	v_mul_f64 v[16:17], v[18:19], 0.5
	v_mul_f64 v[18:19], v[20:21], 0.5
	;; [unrolled: 1-line block ×3, first 2 shown]
	s_waitcnt vmcnt(1)
	v_mul_f64 v[14:15], v[16:17], v[6:7]
	v_fma_f64 v[20:21], v[18:19], v[6:7], v[2:3]
	v_fma_f64 v[6:7], v[18:19], v[6:7], -v[2:3]
	v_fma_f64 v[22:23], v[0:1], 0.5, v[14:15]
	v_fma_f64 v[14:15], v[0:1], 0.5, -v[14:15]
	v_add_co_u32_e32 v0, vcc, s6, v8
	v_addc_co_u32_e32 v1, vcc, v24, v9, vcc
	global_load_dwordx4 v[0:3], v[0:1], off
	v_fma_f64 v[8:9], -v[4:5], v[16:17], v[20:21]
	v_fma_f64 v[6:7], -v[4:5], v[16:17], v[6:7]
	v_fma_f64 v[16:17], v[18:19], v[4:5], v[22:23]
	v_fma_f64 v[4:5], -v[18:19], v[4:5], v[14:15]
	ds_write2_b64 v33, v[16:17], v[8:9] offset1:1
	ds_write_b128 v34, v[4:7] offset:33280
	ds_read_b128 v[4:7], v89
	ds_read_b128 v[14:17], v34 offset:30720
	s_waitcnt lgkmcnt(0)
	v_add_f64 v[8:9], v[4:5], -v[14:15]
	v_add_f64 v[18:19], v[6:7], v[16:17]
	v_add_f64 v[6:7], v[6:7], -v[16:17]
	v_add_f64 v[4:5], v[4:5], v[14:15]
	v_mul_f64 v[8:9], v[8:9], 0.5
	v_mul_f64 v[16:17], v[18:19], 0.5
	;; [unrolled: 1-line block ×3, first 2 shown]
	s_waitcnt vmcnt(1)
	v_mul_f64 v[14:15], v[8:9], v[12:13]
	v_fma_f64 v[18:19], v[16:17], v[12:13], v[6:7]
	v_fma_f64 v[6:7], v[16:17], v[12:13], -v[6:7]
	v_fma_f64 v[12:13], v[4:5], 0.5, v[14:15]
	v_fma_f64 v[4:5], v[4:5], 0.5, -v[14:15]
	v_fma_f64 v[14:15], -v[10:11], v[8:9], v[18:19]
	v_fma_f64 v[6:7], -v[10:11], v[8:9], v[6:7]
	v_fma_f64 v[8:9], v[16:17], v[10:11], v[12:13]
	v_fma_f64 v[4:5], -v[16:17], v[10:11], v[4:5]
	ds_write2_b64 v89, v[8:9], v[14:15] offset1:1
	ds_write_b128 v34, v[4:7] offset:30720
	ds_read_b128 v[4:7], v32
	ds_read_b128 v[8:11], v34 offset:28160
	s_waitcnt lgkmcnt(0)
	v_add_f64 v[12:13], v[4:5], -v[8:9]
	v_add_f64 v[14:15], v[6:7], v[10:11]
	v_add_f64 v[6:7], v[6:7], -v[10:11]
	v_add_f64 v[4:5], v[4:5], v[8:9]
	v_mul_f64 v[10:11], v[12:13], 0.5
	v_mul_f64 v[12:13], v[14:15], 0.5
	;; [unrolled: 1-line block ×3, first 2 shown]
	s_waitcnt vmcnt(0)
	v_mul_f64 v[8:9], v[10:11], v[2:3]
	v_fma_f64 v[14:15], v[12:13], v[2:3], v[6:7]
	v_fma_f64 v[2:3], v[12:13], v[2:3], -v[6:7]
	v_fma_f64 v[6:7], v[4:5], 0.5, v[8:9]
	v_fma_f64 v[4:5], v[4:5], 0.5, -v[8:9]
	v_fma_f64 v[8:9], -v[0:1], v[10:11], v[14:15]
	v_fma_f64 v[2:3], -v[0:1], v[10:11], v[2:3]
	v_fma_f64 v[6:7], v[12:13], v[0:1], v[6:7]
	v_fma_f64 v[0:1], -v[12:13], v[0:1], v[4:5]
	ds_write2_b64 v32, v[6:7], v[8:9] offset1:1
	ds_write_b128 v34, v[0:3] offset:28160
	s_waitcnt lgkmcnt(0)
	s_barrier
	s_and_saveexec_b64 s[4:5], s[0:1]
	s_cbranch_execz .LBB0_20
; %bb.18:
	v_mul_lo_u32 v2, s3, v60
	v_mul_lo_u32 v3, s2, v61
	v_mad_u64_u32 v[0:1], s[0:1], s2, v60, 0
	v_mov_b32_e32 v6, s11
	v_lshl_add_u32 v16, v56, 4, 0
	v_add3_u32 v1, v1, v3, v2
	v_lshlrev_b64 v[0:1], 4, v[0:1]
	v_mov_b32_e32 v57, 0
	v_add_co_u32_e32 v0, vcc, s10, v0
	v_addc_co_u32_e32 v8, vcc, v6, v1, vcc
	v_lshlrev_b64 v[6:7], 4, v[58:59]
	ds_read_b128 v[2:5], v16
	v_add_co_u32_e32 v1, vcc, v0, v6
	v_addc_co_u32_e32 v0, vcc, v8, v7, vcc
	v_lshlrev_b64 v[6:7], 4, v[56:57]
	s_movk_i32 s0, 0x9f
	v_add_co_u32_e32 v10, vcc, v1, v6
	v_addc_co_u32_e32 v11, vcc, v0, v7, vcc
	ds_read_b128 v[6:9], v16 offset:48640
	s_waitcnt lgkmcnt(1)
	global_store_dwordx4 v[10:11], v[2:5], off
	v_add_u32_e32 v10, 0xa0, v56
	v_mov_b32_e32 v11, v57
	ds_read_b128 v[2:5], v16 offset:2560
	v_lshlrev_b64 v[10:11], 4, v[10:11]
	v_add_co_u32_e32 v14, vcc, v1, v10
	v_addc_co_u32_e32 v15, vcc, v0, v11, vcc
	ds_read_b128 v[10:13], v16 offset:5120
	s_waitcnt lgkmcnt(1)
	global_store_dwordx4 v[14:15], v[2:5], off
	s_nop 0
	v_add_u32_e32 v2, 0x140, v56
	v_mov_b32_e32 v3, v57
	v_lshlrev_b64 v[2:3], 4, v[2:3]
	v_add_co_u32_e32 v2, vcc, v1, v2
	v_addc_co_u32_e32 v3, vcc, v0, v3, vcc
	s_waitcnt lgkmcnt(0)
	global_store_dwordx4 v[2:3], v[10:13], off
	ds_read_b128 v[2:5], v16 offset:7680
	v_add_u32_e32 v10, 0x1e0, v56
	v_mov_b32_e32 v11, v57
	v_lshlrev_b64 v[10:11], 4, v[10:11]
	v_add_co_u32_e32 v14, vcc, v1, v10
	v_addc_co_u32_e32 v15, vcc, v0, v11, vcc
	ds_read_b128 v[10:13], v16 offset:10240
	s_waitcnt lgkmcnt(1)
	global_store_dwordx4 v[14:15], v[2:5], off
	s_nop 0
	v_add_u32_e32 v2, 0x280, v56
	v_mov_b32_e32 v3, v57
	v_lshlrev_b64 v[2:3], 4, v[2:3]
	v_add_co_u32_e32 v2, vcc, v1, v2
	v_addc_co_u32_e32 v3, vcc, v0, v3, vcc
	s_waitcnt lgkmcnt(0)
	global_store_dwordx4 v[2:3], v[10:13], off
	ds_read_b128 v[2:5], v16 offset:12800
	v_add_u32_e32 v10, 0x320, v56
	v_mov_b32_e32 v11, v57
	;; [unrolled: 17-line block ×8, first 2 shown]
	v_lshlrev_b64 v[10:11], 4, v[10:11]
	v_add_co_u32_e32 v14, vcc, v1, v10
	v_addc_co_u32_e32 v15, vcc, v0, v11, vcc
	ds_read_b128 v[10:13], v16 offset:46080
	s_waitcnt lgkmcnt(1)
	global_store_dwordx4 v[14:15], v[2:5], off
	s_nop 0
	v_add_u32_e32 v2, 0xb40, v56
	v_mov_b32_e32 v3, v57
	v_lshlrev_b64 v[2:3], 4, v[2:3]
	v_add_co_u32_e32 v2, vcc, v1, v2
	v_addc_co_u32_e32 v3, vcc, v0, v3, vcc
	s_waitcnt lgkmcnt(0)
	global_store_dwordx4 v[2:3], v[10:13], off
	v_add_u32_e32 v2, 0xbe0, v56
	v_mov_b32_e32 v3, v57
	v_lshlrev_b64 v[2:3], 4, v[2:3]
	v_add_co_u32_e32 v2, vcc, v1, v2
	v_addc_co_u32_e32 v3, vcc, v0, v3, vcc
	v_cmp_eq_u32_e32 vcc, s0, v56
	global_store_dwordx4 v[2:3], v[6:9], off
	s_and_b64 exec, exec, vcc
	s_cbranch_execz .LBB0_20
; %bb.19:
	ds_read_b128 v[2:5], v57 offset:51200
	v_add_co_u32_e32 v6, vcc, 0xc000, v1
	v_addc_co_u32_e32 v7, vcc, 0, v0, vcc
	s_waitcnt lgkmcnt(0)
	global_store_dwordx4 v[6:7], v[2:5], off offset:2048
.LBB0_20:
	s_endpgm
	.section	.rodata,"a",@progbits
	.p2align	6, 0x0
	.amdhsa_kernel fft_rtc_back_len3200_factors_10_10_4_4_2_wgs_160_tpt_160_halfLds_dp_op_CI_CI_unitstride_sbrr_R2C_dirReg
		.amdhsa_group_segment_fixed_size 0
		.amdhsa_private_segment_fixed_size 0
		.amdhsa_kernarg_size 104
		.amdhsa_user_sgpr_count 6
		.amdhsa_user_sgpr_private_segment_buffer 1
		.amdhsa_user_sgpr_dispatch_ptr 0
		.amdhsa_user_sgpr_queue_ptr 0
		.amdhsa_user_sgpr_kernarg_segment_ptr 1
		.amdhsa_user_sgpr_dispatch_id 0
		.amdhsa_user_sgpr_flat_scratch_init 0
		.amdhsa_user_sgpr_private_segment_size 0
		.amdhsa_uses_dynamic_stack 0
		.amdhsa_system_sgpr_private_segment_wavefront_offset 0
		.amdhsa_system_sgpr_workgroup_id_x 1
		.amdhsa_system_sgpr_workgroup_id_y 0
		.amdhsa_system_sgpr_workgroup_id_z 0
		.amdhsa_system_sgpr_workgroup_info 0
		.amdhsa_system_vgpr_workitem_id 0
		.amdhsa_next_free_vgpr 176
		.amdhsa_next_free_sgpr 28
		.amdhsa_reserve_vcc 1
		.amdhsa_reserve_flat_scratch 0
		.amdhsa_float_round_mode_32 0
		.amdhsa_float_round_mode_16_64 0
		.amdhsa_float_denorm_mode_32 3
		.amdhsa_float_denorm_mode_16_64 3
		.amdhsa_dx10_clamp 1
		.amdhsa_ieee_mode 1
		.amdhsa_fp16_overflow 0
		.amdhsa_exception_fp_ieee_invalid_op 0
		.amdhsa_exception_fp_denorm_src 0
		.amdhsa_exception_fp_ieee_div_zero 0
		.amdhsa_exception_fp_ieee_overflow 0
		.amdhsa_exception_fp_ieee_underflow 0
		.amdhsa_exception_fp_ieee_inexact 0
		.amdhsa_exception_int_div_zero 0
	.end_amdhsa_kernel
	.text
.Lfunc_end0:
	.size	fft_rtc_back_len3200_factors_10_10_4_4_2_wgs_160_tpt_160_halfLds_dp_op_CI_CI_unitstride_sbrr_R2C_dirReg, .Lfunc_end0-fft_rtc_back_len3200_factors_10_10_4_4_2_wgs_160_tpt_160_halfLds_dp_op_CI_CI_unitstride_sbrr_R2C_dirReg
                                        ; -- End function
	.section	.AMDGPU.csdata,"",@progbits
; Kernel info:
; codeLenInByte = 16972
; NumSgprs: 32
; NumVgprs: 176
; ScratchSize: 0
; MemoryBound: 0
; FloatMode: 240
; IeeeMode: 1
; LDSByteSize: 0 bytes/workgroup (compile time only)
; SGPRBlocks: 3
; VGPRBlocks: 43
; NumSGPRsForWavesPerEU: 32
; NumVGPRsForWavesPerEU: 176
; Occupancy: 1
; WaveLimiterHint : 1
; COMPUTE_PGM_RSRC2:SCRATCH_EN: 0
; COMPUTE_PGM_RSRC2:USER_SGPR: 6
; COMPUTE_PGM_RSRC2:TRAP_HANDLER: 0
; COMPUTE_PGM_RSRC2:TGID_X_EN: 1
; COMPUTE_PGM_RSRC2:TGID_Y_EN: 0
; COMPUTE_PGM_RSRC2:TGID_Z_EN: 0
; COMPUTE_PGM_RSRC2:TIDIG_COMP_CNT: 0
	.type	__hip_cuid_61f75b8a5adf3ca6,@object ; @__hip_cuid_61f75b8a5adf3ca6
	.section	.bss,"aw",@nobits
	.globl	__hip_cuid_61f75b8a5adf3ca6
__hip_cuid_61f75b8a5adf3ca6:
	.byte	0                               ; 0x0
	.size	__hip_cuid_61f75b8a5adf3ca6, 1

	.ident	"AMD clang version 19.0.0git (https://github.com/RadeonOpenCompute/llvm-project roc-6.4.0 25133 c7fe45cf4b819c5991fe208aaa96edf142730f1d)"
	.section	".note.GNU-stack","",@progbits
	.addrsig
	.addrsig_sym __hip_cuid_61f75b8a5adf3ca6
	.amdgpu_metadata
---
amdhsa.kernels:
  - .args:
      - .actual_access:  read_only
        .address_space:  global
        .offset:         0
        .size:           8
        .value_kind:     global_buffer
      - .offset:         8
        .size:           8
        .value_kind:     by_value
      - .actual_access:  read_only
        .address_space:  global
        .offset:         16
        .size:           8
        .value_kind:     global_buffer
      - .actual_access:  read_only
        .address_space:  global
        .offset:         24
        .size:           8
        .value_kind:     global_buffer
      - .actual_access:  read_only
        .address_space:  global
        .offset:         32
        .size:           8
        .value_kind:     global_buffer
      - .offset:         40
        .size:           8
        .value_kind:     by_value
      - .actual_access:  read_only
        .address_space:  global
        .offset:         48
        .size:           8
        .value_kind:     global_buffer
      - .actual_access:  read_only
        .address_space:  global
        .offset:         56
        .size:           8
        .value_kind:     global_buffer
      - .offset:         64
        .size:           4
        .value_kind:     by_value
      - .actual_access:  read_only
        .address_space:  global
        .offset:         72
        .size:           8
        .value_kind:     global_buffer
      - .actual_access:  read_only
        .address_space:  global
        .offset:         80
        .size:           8
        .value_kind:     global_buffer
      - .actual_access:  read_only
        .address_space:  global
        .offset:         88
        .size:           8
        .value_kind:     global_buffer
      - .actual_access:  write_only
        .address_space:  global
        .offset:         96
        .size:           8
        .value_kind:     global_buffer
    .group_segment_fixed_size: 0
    .kernarg_segment_align: 8
    .kernarg_segment_size: 104
    .language:       OpenCL C
    .language_version:
      - 2
      - 0
    .max_flat_workgroup_size: 160
    .name:           fft_rtc_back_len3200_factors_10_10_4_4_2_wgs_160_tpt_160_halfLds_dp_op_CI_CI_unitstride_sbrr_R2C_dirReg
    .private_segment_fixed_size: 0
    .sgpr_count:     32
    .sgpr_spill_count: 0
    .symbol:         fft_rtc_back_len3200_factors_10_10_4_4_2_wgs_160_tpt_160_halfLds_dp_op_CI_CI_unitstride_sbrr_R2C_dirReg.kd
    .uniform_work_group_size: 1
    .uses_dynamic_stack: false
    .vgpr_count:     176
    .vgpr_spill_count: 0
    .wavefront_size: 64
amdhsa.target:   amdgcn-amd-amdhsa--gfx906
amdhsa.version:
  - 1
  - 2
...

	.end_amdgpu_metadata
